;; amdgpu-corpus repo=ROCm/rocFFT kind=compiled arch=gfx1201 opt=O3
	.text
	.amdgcn_target "amdgcn-amd-amdhsa--gfx1201"
	.amdhsa_code_object_version 6
	.protected	bluestein_single_fwd_len3125_dim1_dp_op_CI_CI ; -- Begin function bluestein_single_fwd_len3125_dim1_dp_op_CI_CI
	.globl	bluestein_single_fwd_len3125_dim1_dp_op_CI_CI
	.p2align	8
	.type	bluestein_single_fwd_len3125_dim1_dp_op_CI_CI,@function
bluestein_single_fwd_len3125_dim1_dp_op_CI_CI: ; @bluestein_single_fwd_len3125_dim1_dp_op_CI_CI
; %bb.0:
	s_load_b128 s[16:19], s[0:1], 0x28
	v_mul_u32_u24_e32 v1, 0x20d, v0
	s_mov_b32 s2, exec_lo
	v_mov_b32_e32 v3, 0
	s_delay_alu instid0(VALU_DEP_2) | instskip(NEXT) | instid1(VALU_DEP_1)
	v_lshrrev_b32_e32 v1, 16, v1
	v_add_nc_u32_e32 v2, ttmp9, v1
	s_wait_kmcnt 0x0
	s_delay_alu instid0(VALU_DEP_1)
	v_cmpx_gt_u64_e64 s[16:17], v[2:3]
	s_cbranch_execz .LBB0_2
; %bb.1:
	s_clause 0x1
	s_load_b128 s[4:7], s[0:1], 0x18
	s_load_b128 s[8:11], s[0:1], 0x0
	v_mul_lo_u16 v1, 0x7d, v1
	s_mov_b32 s2, 0xffff6b90
	s_mov_b32 s3, -1
	s_mov_b32 s21, 0xbfee6f0e
	s_mov_b32 s16, 0x372fe950
	v_sub_nc_u16 v10, v0, v1
	v_mov_b32_e32 v0, v2
	s_mov_b32 s17, 0x3fd3c6ef
	s_load_b64 s[0:1], s[0:1], 0x38
	s_delay_alu instid0(VALU_DEP_2) | instskip(NEXT) | instid1(VALU_DEP_2)
	v_and_b32_e32 v220, 0xffff, v10
	v_mov_b32_e32 v4, v0
	v_mul_lo_u16 v9, v10, 5
	scratch_store_b64 off, v[4:5], off      ; 8-byte Folded Spill
	v_and_b32_e32 v9, 0xffff, v9
	s_wait_kmcnt 0x0
	s_load_b128 s[12:15], s[4:5], 0x0
	s_delay_alu instid0(VALU_DEP_1) | instskip(SKIP_4) | instid1(VALU_DEP_2)
	v_lshlrev_b32_e32 v9, 4, v9
	s_wait_kmcnt 0x0
	v_mad_co_u64_u32 v[2:3], null, s14, v0, 0
	v_mad_co_u64_u32 v[0:1], null, s12, v220, 0
	s_mul_u64 s[4:5], s[12:13], 0x2710
	v_mad_co_u64_u32 v[3:4], null, s15, v4, v[3:4]
	s_delay_alu instid0(VALU_DEP_2) | instskip(SKIP_2) | instid1(VALU_DEP_2)
	v_mad_co_u64_u32 v[4:5], null, s13, v220, v[1:2]
	s_mul_u64 s[12:13], s[12:13], s[2:3]
	s_mov_b32 s15, 0xbfe2cf23
	v_lshlrev_b64_e32 v[2:3], 4, v[2:3]
	s_delay_alu instid0(VALU_DEP_2) | instskip(NEXT) | instid1(VALU_DEP_2)
	v_dual_mov_b32 v1, v4 :: v_dual_lshlrev_b32 v8, 4, v220
	v_add_co_u32 v2, vcc_lo, s18, v2
	s_delay_alu instid0(VALU_DEP_2) | instskip(NEXT) | instid1(VALU_DEP_4)
	v_lshlrev_b64_e32 v[0:1], 4, v[0:1]
	v_add_co_ci_u32_e32 v3, vcc_lo, s19, v3, vcc_lo
	global_load_b128 v[49:52], v8, s[8:9]
	s_mov_b32 s18, 0x134454ff
	s_mov_b32 s19, 0x3fee6f0e
	v_add_co_u32 v0, vcc_lo, v2, v0
	s_wait_alu 0xfffd
	v_add_co_ci_u32_e32 v1, vcc_lo, v3, v1, vcc_lo
	s_wait_alu 0xfffe
	s_mov_b32 s20, s18
	v_add_co_u32 v4, vcc_lo, v0, s4
	s_wait_alu 0xfffd
	v_add_co_ci_u32_e32 v5, vcc_lo, s5, v1, vcc_lo
	global_load_b128 v[0:3], v[0:1], off
	v_add_co_u32 v15, vcc_lo, v4, s4
	s_wait_alu 0xfffd
	v_add_co_ci_u32_e32 v16, vcc_lo, s5, v5, vcc_lo
	global_load_b128 v[95:98], v8, s[8:9] offset:10000
	global_load_b128 v[4:7], v[4:5], off
	global_load_b128 v[91:94], v8, s[8:9] offset:20000
	global_load_b128 v[11:14], v[15:16], off
	v_add_co_u32 v19, vcc_lo, v15, s4
	s_wait_alu 0xfffd
	v_add_co_ci_u32_e32 v20, vcc_lo, s5, v16, vcc_lo
	global_load_b128 v[87:90], v8, s[8:9] offset:30000
	global_load_b128 v[15:18], v[19:20], off
	v_add_co_u32 v23, vcc_lo, v19, s4
	s_wait_alu 0xfffd
	v_add_co_ci_u32_e32 v24, vcc_lo, s5, v20, vcc_lo
	;; [unrolled: 5-line block ×8, first 2 shown]
	s_delay_alu instid0(VALU_DEP_2) | instskip(SKIP_1) | instid1(VALU_DEP_2)
	v_add_co_u32 v61, vcc_lo, v47, s4
	s_wait_alu 0xfffd
	v_add_co_ci_u32_e32 v62, vcc_lo, s5, v48, vcc_lo
	s_wait_loadcnt 0x13
	v_dual_mov_b32 v43, v49 :: v_dual_mov_b32 v46, v52
	v_dual_mov_b32 v44, v50 :: v_dual_mov_b32 v45, v51
	s_wait_loadcnt 0x11
	scratch_store_b128 off, v[95:98], off offset:376 ; 16-byte Folded Spill
	s_wait_loadcnt 0x10
	v_mul_f64_e32 v[53:54], v[6:7], v[97:98]
	s_wait_loadcnt 0xf
	v_dual_mov_b32 v106, v94 :: v_dual_mov_b32 v105, v93
	v_dual_mov_b32 v103, v91 :: v_dual_mov_b32 v110, v46
	v_mov_b32_e32 v107, v43
	v_mul_f64_e32 v[49:50], v[2:3], v[45:46]
	v_mul_f64_e32 v[51:52], v[0:1], v[45:46]
	v_dual_mov_b32 v109, v45 :: v_dual_mov_b32 v108, v44
	global_load_b128 v[99:102], v8, s[8:9] offset:4000
	global_load_b128 v[43:46], v[47:48], off
	s_wait_loadcnt 0x10
	v_mul_f64_e32 v[57:58], v[13:14], v[93:94]
	v_mul_f64_e32 v[59:60], v[11:12], v[93:94]
	v_mov_b32_e32 v104, v92
	global_load_b128 v[91:94], v8, s[8:9] offset:14000
	v_mul_f64_e32 v[55:56], v[4:5], v[97:98]
	scratch_store_b128 off, v[107:110], off offset:392 ; 16-byte Folded Spill
	s_wait_loadcnt 0x10
	s_clause 0x1
	scratch_store_b128 off, v[87:90], off offset:344
	scratch_store_b128 off, v[103:106], off offset:360
	s_wait_loadcnt 0xe
	scratch_store_b128 off, v[83:86], off offset:328 ; 16-byte Folded Spill
	s_wait_loadcnt 0xc
	scratch_store_b128 off, v[79:82], off offset:232 ; 16-byte Folded Spill
	v_fma_f64 v[4:5], v[4:5], v[95:96], v[53:54]
	v_mul_f64_e32 v[53:54], v[15:16], v[89:90]
	s_wait_loadcnt 0x6
	scratch_store_b128 off, v[63:66], off offset:72 ; 16-byte Folded Spill
	v_fma_f64 v[0:1], v[0:1], v[107:108], v[49:50]
	global_load_b128 v[47:50], v[61:62], off
	v_fma_f64 v[2:3], v[2:3], v[107:108], -v[51:52]
	v_mul_f64_e32 v[51:52], v[17:18], v[89:90]
	v_fma_f64 v[11:12], v[11:12], v[103:104], v[57:58]
	v_fma_f64 v[13:14], v[13:14], v[103:104], -v[59:60]
	s_wait_loadcnt 0x5
	scratch_store_b128 off, v[67:70], off offset:24 ; 16-byte Folded Spill
	v_fma_f64 v[6:7], v[6:7], v[95:96], -v[55:56]
	v_add_co_u32 v55, vcc_lo, v61, s4
	s_wait_alu 0xfffd
	v_add_co_ci_u32_e32 v56, vcc_lo, s5, v62, vcc_lo
	v_fma_f64 v[17:18], v[17:18], v[87:88], -v[53:54]
	v_mul_f64_e32 v[53:54], v[19:20], v[85:86]
	v_fma_f64 v[15:16], v[15:16], v[87:88], v[51:52]
	v_mul_f64_e32 v[51:52], v[21:22], v[85:86]
	s_delay_alu instid0(VALU_DEP_3) | instskip(SKIP_1) | instid1(VALU_DEP_3)
	v_fma_f64 v[21:22], v[21:22], v[83:84], -v[53:54]
	v_mul_f64_e32 v[53:54], v[23:24], v[81:82]
	v_fma_f64 v[19:20], v[19:20], v[83:84], v[51:52]
	v_mul_f64_e32 v[51:52], v[25:26], v[81:82]
	s_delay_alu instid0(VALU_DEP_3) | instskip(SKIP_1) | instid1(VALU_DEP_3)
	;; [unrolled: 5-line block ×4, first 2 shown]
	v_fma_f64 v[33:34], v[33:34], v[71:72], -v[53:54]
	v_mul_f64_e32 v[53:54], v[35:36], v[65:66]
	v_fma_f64 v[31:32], v[31:32], v[71:72], v[51:52]
	v_mul_f64_e32 v[51:52], v[37:38], v[65:66]
	s_delay_alu instid0(VALU_DEP_3) | instskip(SKIP_2) | instid1(VALU_DEP_3)
	v_fma_f64 v[37:38], v[37:38], v[63:64], -v[53:54]
	s_wait_loadcnt 0x4
	v_mul_f64_e32 v[53:54], v[39:40], v[69:70]
	v_fma_f64 v[35:36], v[35:36], v[63:64], v[51:52]
	v_mul_f64_e32 v[51:52], v[41:42], v[69:70]
	global_load_b128 v[61:64], v8, s[8:9] offset:24000
	scratch_store_b128 off, v[71:74], off offset:120 ; 16-byte Folded Spill
	v_fma_f64 v[41:42], v[41:42], v[67:68], -v[53:54]
	v_fma_f64 v[39:40], v[39:40], v[67:68], v[51:52]
	global_load_b128 v[65:68], v8, s[8:9] offset:34000
	scratch_store_b128 off, v[75:78], off offset:168 ; 16-byte Folded Spill
	s_wait_loadcnt 0x5
	scratch_store_b128 off, v[99:102], off offset:56 ; 16-byte Folded Spill
	s_wait_loadcnt 0x4
	v_mul_f64_e32 v[51:52], v[45:46], v[101:102]
	v_mul_f64_e32 v[53:54], v[43:44], v[101:102]
	s_wait_loadcnt 0x3
	scratch_store_b128 off, v[91:94], off offset:104 ; 16-byte Folded Spill
	v_fma_f64 v[43:44], v[43:44], v[99:100], v[51:52]
	v_fma_f64 v[45:46], v[45:46], v[99:100], -v[53:54]
	s_wait_loadcnt 0x2
	v_mul_f64_e32 v[51:52], v[49:50], v[93:94]
	v_mul_f64_e32 v[53:54], v[47:48], v[93:94]
	s_delay_alu instid0(VALU_DEP_2) | instskip(NEXT) | instid1(VALU_DEP_2)
	v_fma_f64 v[47:48], v[47:48], v[91:92], v[51:52]
	v_fma_f64 v[49:50], v[49:50], v[91:92], -v[53:54]
	global_load_b128 v[51:54], v[55:56], off
	s_wait_loadcnt 0x2
	scratch_store_b128 off, v[61:64], off offset:152 ; 16-byte Folded Spill
	s_wait_loadcnt 0x1
	scratch_store_b128 off, v[65:68], off offset:200 ; 16-byte Folded Spill
	s_wait_loadcnt 0x0
	v_mul_f64_e32 v[59:60], v[51:52], v[63:64]
	v_mul_f64_e32 v[57:58], v[53:54], v[63:64]
	s_delay_alu instid0(VALU_DEP_2) | instskip(SKIP_3) | instid1(VALU_DEP_4)
	v_fma_f64 v[53:54], v[53:54], v[61:62], -v[59:60]
	v_add_co_u32 v59, vcc_lo, v55, s4
	s_wait_alu 0xfffd
	v_add_co_ci_u32_e32 v60, vcc_lo, s5, v56, vcc_lo
	v_fma_f64 v[51:52], v[51:52], v[61:62], v[57:58]
	global_load_b128 v[55:58], v[59:60], off
	s_wait_loadcnt 0x0
	v_mul_f64_e32 v[63:64], v[55:56], v[67:68]
	v_mul_f64_e32 v[61:62], v[57:58], v[67:68]
	s_delay_alu instid0(VALU_DEP_2) | instskip(SKIP_3) | instid1(VALU_DEP_4)
	v_fma_f64 v[57:58], v[57:58], v[65:66], -v[63:64]
	v_add_co_u32 v63, vcc_lo, v59, s4
	s_wait_alu 0xfffd
	v_add_co_ci_u32_e32 v64, vcc_lo, s5, v60, vcc_lo
	v_fma_f64 v[55:56], v[55:56], v[65:66], v[61:62]
	global_load_b128 v[69:72], v8, s[8:9] offset:44000
	global_load_b128 v[59:62], v[63:64], off
	s_clause 0x8
	global_load_b128 v[73:76], v8, s[8:9] offset:6000
	global_load_b128 v[93:96], v8, s[8:9] offset:8000
	;; [unrolled: 1-line block ×9, first 2 shown]
	s_wait_loadcnt 0xa
	scratch_store_b128 off, v[69:72], off offset:312 ; 16-byte Folded Spill
	s_wait_loadcnt 0x9
	v_mul_f64_e32 v[67:68], v[59:60], v[71:72]
	v_mul_f64_e32 v[65:66], v[61:62], v[71:72]
	s_wait_loadcnt 0x8
	scratch_store_b128 off, v[73:76], off offset:280 ; 16-byte Folded Spill
	s_wait_loadcnt 0x6
	s_clause 0x1
	scratch_store_b128 off, v[77:80], off offset:296
	scratch_store_b128 off, v[93:96], off offset:136
	s_wait_loadcnt 0x4
	scratch_store_b128 off, v[85:88], off offset:40 ; 16-byte Folded Spill
	s_wait_loadcnt 0x3
	scratch_store_b128 off, v[105:108], off offset:248 ; 16-byte Folded Spill
	s_wait_loadcnt 0x2
	s_clause 0x1
	scratch_store_b128 off, v[81:84], off offset:8
	scratch_store_b128 off, v[97:100], off offset:184
	s_wait_loadcnt 0x1
	scratch_store_b128 off, v[101:104], off offset:216 ; 16-byte Folded Spill
	s_wait_loadcnt 0x0
	scratch_store_b128 off, v[89:92], off offset:88 ; 16-byte Folded Spill
	v_fma_f64 v[61:62], v[61:62], v[69:70], -v[67:68]
	v_add_co_u32 v67, vcc_lo, v63, s12
	s_wait_alu 0xfffd
	v_add_co_ci_u32_e32 v68, vcc_lo, s13, v64, vcc_lo
	v_fma_f64 v[59:60], v[59:60], v[69:70], v[65:66]
	global_load_b128 v[63:66], v[67:68], off
	s_wait_loadcnt 0x0
	v_mul_f64_e32 v[71:72], v[63:64], v[75:76]
	v_mul_f64_e32 v[69:70], v[65:66], v[75:76]
	s_delay_alu instid0(VALU_DEP_2) | instskip(SKIP_3) | instid1(VALU_DEP_4)
	v_fma_f64 v[65:66], v[65:66], v[73:74], -v[71:72]
	v_add_co_u32 v71, vcc_lo, v67, s4
	s_wait_alu 0xfffd
	v_add_co_ci_u32_e32 v72, vcc_lo, s5, v68, vcc_lo
	v_fma_f64 v[63:64], v[63:64], v[73:74], v[69:70]
	global_load_b128 v[67:70], v[71:72], off
	s_wait_loadcnt 0x0
	v_mul_f64_e32 v[75:76], v[67:68], v[79:80]
	v_mul_f64_e32 v[73:74], v[69:70], v[79:80]
	s_delay_alu instid0(VALU_DEP_2) | instskip(SKIP_3) | instid1(VALU_DEP_4)
	;; [unrolled: 10-line block ×5, first 2 shown]
	v_fma_f64 v[81:82], v[81:82], v[89:90], -v[87:88]
	v_add_co_u32 v87, vcc_lo, v83, s12
	s_wait_alu 0xfffd
	v_add_co_ci_u32_e32 v88, vcc_lo, s13, v84, vcc_lo
	v_fma_f64 v[79:80], v[79:80], v[89:90], v[85:86]
	s_mov_b32 s12, 0x4755a5e
	s_mov_b32 s13, 0x3fe2cf23
	global_load_b128 v[83:86], v[87:88], off
	s_wait_alu 0xfffe
	s_mov_b32 s14, s12
	s_wait_loadcnt 0x0
	v_mul_f64_e32 v[91:92], v[83:84], v[95:96]
	v_mul_f64_e32 v[89:90], v[85:86], v[95:96]
	s_delay_alu instid0(VALU_DEP_2) | instskip(SKIP_3) | instid1(VALU_DEP_4)
	v_fma_f64 v[85:86], v[85:86], v[93:94], -v[91:92]
	v_add_co_u32 v91, vcc_lo, v87, s4
	s_wait_alu 0xfffd
	v_add_co_ci_u32_e32 v92, vcc_lo, s5, v88, vcc_lo
	v_fma_f64 v[83:84], v[83:84], v[93:94], v[89:90]
	global_load_b128 v[87:90], v[91:92], off
	s_wait_loadcnt 0x0
	v_mul_f64_e32 v[95:96], v[87:88], v[99:100]
	v_mul_f64_e32 v[93:94], v[89:90], v[99:100]
	s_delay_alu instid0(VALU_DEP_2) | instskip(SKIP_3) | instid1(VALU_DEP_4)
	v_fma_f64 v[89:90], v[89:90], v[97:98], -v[95:96]
	v_add_co_u32 v95, vcc_lo, v91, s4
	s_wait_alu 0xfffd
	v_add_co_ci_u32_e32 v96, vcc_lo, s5, v92, vcc_lo
	v_fma_f64 v[87:88], v[87:88], v[97:98], v[93:94]
	global_load_b128 v[91:94], v[95:96], off
	;; [unrolled: 10-line block ×3, first 2 shown]
	v_add_co_u32 v99, vcc_lo, v99, s4
	s_wait_alu 0xfffd
	v_add_co_ci_u32_e32 v100, vcc_lo, s5, v100, vcc_lo
	s_wait_loadcnt 0x0
	v_mul_f64_e32 v[101:102], v[97:98], v[107:108]
	v_mul_f64_e32 v[103:104], v[95:96], v[107:108]
	s_delay_alu instid0(VALU_DEP_2)
	v_fma_f64 v[95:96], v[95:96], v[105:106], v[101:102]
	global_load_b128 v[99:102], v[99:100], off
	global_load_b128 v[107:110], v8, s[8:9] offset:48000
	v_fma_f64 v[97:98], v[97:98], v[105:106], -v[103:104]
	s_wait_loadcnt 0x0
	v_mul_f64_e32 v[103:104], v[101:102], v[109:110]
	v_mul_f64_e32 v[105:106], v[99:100], v[109:110]
	scratch_store_b128 off, v[107:110], off offset:264 ; 16-byte Folded Spill
	ds_store_b128 v8, v[0:3]
	ds_store_b128 v8, v[4:7] offset:10000
	ds_store_b128 v8, v[11:14] offset:20000
	;; [unrolled: 1-line block ×23, first 2 shown]
	s_load_b128 s[4:7], s[6:7], 0x0
	s_wait_kmcnt 0x0
	s_mul_u64 s[2:3], s[4:5], s[2:3]
	v_fma_f64 v[99:100], v[99:100], v[107:108], v[103:104]
	v_fma_f64 v[101:102], v[101:102], v[107:108], -v[105:106]
	ds_store_b128 v8, v[99:102] offset:48000
	global_wb scope:SCOPE_SE
	s_wait_storecnt_dscnt 0x0
	s_barrier_signal -1
	s_barrier_wait -1
	global_inv scope:SCOPE_SE
	ds_load_b128 v[0:3], v8 offset:10000
	ds_load_b128 v[16:19], v8
	ds_load_b128 v[4:7], v8 offset:20000
	s_wait_dscnt 0x1
	v_add_f64_e32 v[11:12], v[16:17], v[0:1]
	s_wait_dscnt 0x0
	v_add_f64_e64 v[166:167], v[0:1], -v[4:5]
	v_add_f64_e64 v[168:169], v[4:5], -v[0:1]
	;; [unrolled: 1-line block ×4, first 2 shown]
	v_add_f64_e32 v[20:21], v[11:12], v[4:5]
	v_add_f64_e32 v[11:12], v[18:19], v[2:3]
	s_delay_alu instid0(VALU_DEP_1)
	v_add_f64_e32 v[22:23], v[11:12], v[6:7]
	ds_load_b128 v[11:14], v8 offset:30000
	s_wait_dscnt 0x0
	v_add_f64_e32 v[136:137], v[4:5], v[11:12]
	v_add_f64_e64 v[164:165], v[6:7], -v[13:14]
	v_add_f64_e32 v[138:139], v[6:7], v[13:14]
	v_add_f64_e64 v[170:171], v[4:5], -v[11:12]
	ds_load_b128 v[4:7], v8 offset:40000
	s_wait_dscnt 0x0
	v_add_f64_e64 v[176:177], v[2:3], -v[6:7]
	v_add_f64_e32 v[140:141], v[0:1], v[4:5]
	v_add_f64_e64 v[178:179], v[0:1], -v[4:5]
	v_add_f64_e32 v[142:143], v[2:3], v[6:7]
	v_add_f64_e32 v[0:1], v[20:21], v[11:12]
	;; [unrolled: 1-line block ×3, first 2 shown]
	v_add_f64_e64 v[180:181], v[4:5], -v[11:12]
	v_add_f64_e64 v[182:183], v[11:12], -v[4:5]
	;; [unrolled: 1-line block ×4, first 2 shown]
	v_fma_f64 v[212:213], v[136:137], -0.5, v[16:17]
	v_fma_f64 v[216:217], v[138:139], -0.5, v[18:19]
	;; [unrolled: 1-line block ×4, first 2 shown]
	v_add_f64_e32 v[0:1], v[0:1], v[4:5]
	v_add_f64_e32 v[2:3], v[2:3], v[6:7]
	ds_load_b128 v[24:27], v8 offset:2000
	ds_load_b128 v[4:7], v8 offset:12000
	;; [unrolled: 1-line block ×3, first 2 shown]
	v_add_f64_e32 v[168:169], v[168:169], v[182:183]
	v_fma_f64 v[16:17], v[176:177], s[18:19], v[212:213]
	v_fma_f64 v[18:19], v[178:179], s[20:21], v[216:217]
	s_wait_dscnt 0x1
	v_add_f64_e32 v[20:21], v[24:25], v[4:5]
	s_wait_dscnt 0x0
	v_add_f64_e64 v[50:51], v[4:5], -v[11:12]
	v_add_f64_e64 v[28:29], v[11:12], -v[4:5]
	;; [unrolled: 1-line block ×4, first 2 shown]
	v_fma_f64 v[16:17], v[164:165], s[12:13], v[16:17]
	v_fma_f64 v[18:19], v[170:171], s[14:15], v[18:19]
	v_add_f64_e32 v[30:31], v[20:21], v[11:12]
	v_add_f64_e32 v[20:21], v[26:27], v[6:7]
	s_delay_alu instid0(VALU_DEP_1)
	v_add_f64_e32 v[34:35], v[20:21], v[13:14]
	ds_load_b128 v[20:23], v8 offset:32000
	s_wait_dscnt 0x0
	v_add_f64_e32 v[144:145], v[11:12], v[20:21]
	v_add_f64_e64 v[32:33], v[13:14], -v[22:23]
	v_add_f64_e32 v[146:147], v[13:14], v[22:23]
	v_add_f64_e64 v[40:41], v[11:12], -v[20:21]
	ds_load_b128 v[11:14], v8 offset:42000
	s_wait_dscnt 0x0
	v_add_f64_e64 v[36:37], v[6:7], -v[13:14]
	v_add_f64_e32 v[148:149], v[4:5], v[11:12]
	v_add_f64_e64 v[38:39], v[4:5], -v[11:12]
	v_add_f64_e32 v[150:151], v[6:7], v[13:14]
	v_add_f64_e32 v[4:5], v[30:31], v[20:21]
	;; [unrolled: 1-line block ×3, first 2 shown]
	v_add_f64_e64 v[64:65], v[11:12], -v[20:21]
	v_add_f64_e64 v[46:47], v[20:21], -v[11:12]
	;; [unrolled: 1-line block ×4, first 2 shown]
	v_fma_f64 v[152:153], v[144:145], -0.5, v[24:25]
	v_fma_f64 v[154:155], v[146:147], -0.5, v[26:27]
	;; [unrolled: 1-line block ×3, first 2 shown]
	v_add_f64_e32 v[24:25], v[166:167], v[180:181]
	v_fma_f64 v[150:151], v[150:151], -0.5, v[26:27]
	v_add_f64_e32 v[4:5], v[4:5], v[11:12]
	v_add_f64_e32 v[6:7], v[6:7], v[13:14]
	ds_load_b128 v[124:127], v8 offset:4000
	ds_load_b128 v[11:14], v8 offset:14000
	;; [unrolled: 1-line block ×4, first 2 shown]
	v_add_f64_e32 v[50:51], v[50:51], v[64:65]
	v_add_f64_e32 v[54:55], v[54:55], v[66:67]
	;; [unrolled: 1-line block ×5, first 2 shown]
	v_fma_f64 v[64:65], v[36:37], s[18:19], v[152:153]
	v_fma_f64 v[152:153], v[36:37], s[20:21], v[152:153]
	v_fma_f64 v[66:67], v[38:39], s[20:21], v[154:155]
	v_fma_f64 v[154:155], v[38:39], s[18:19], v[154:155]
	v_fma_f64 v[166:167], v[170:171], s[20:21], v[218:219]
	s_wait_dscnt 0x2
	v_add_f64_e32 v[30:31], v[124:125], v[11:12]
	s_wait_dscnt 0x1
	v_add_f64_e64 v[52:53], v[11:12], -v[20:21]
	s_wait_dscnt 0x0
	v_add_f64_e32 v[188:189], v[20:21], v[68:69]
	v_add_f64_e64 v[34:35], v[22:23], -v[70:71]
	v_add_f64_e32 v[190:191], v[22:23], v[70:71]
	v_add_f64_e64 v[44:45], v[20:21], -v[68:69]
	v_add_f64_e64 v[62:63], v[13:14], -v[22:23]
	;; [unrolled: 1-line block ×3, first 2 shown]
	v_fma_f64 v[16:17], v[24:25], s[16:17], v[16:17]
	v_fma_f64 v[18:19], v[26:27], s[16:17], v[18:19]
	;; [unrolled: 1-line block ×7, first 2 shown]
	v_add_f64_e32 v[72:73], v[30:31], v[20:21]
	v_add_f64_e32 v[30:31], v[126:127], v[13:14]
	v_fma_f64 v[144:145], v[188:189], -0.5, v[124:125]
	v_fma_f64 v[146:147], v[190:191], -0.5, v[126:127]
	v_fma_f64 v[64:65], v[50:51], s[16:17], v[64:65]
	v_fma_f64 v[152:153], v[50:51], s[16:17], v[152:153]
	;; [unrolled: 1-line block ×8, first 2 shown]
	v_add_f64_e32 v[74:75], v[30:31], v[22:23]
	v_add_f64_e64 v[30:31], v[20:21], -v[11:12]
	ds_load_b128 v[20:23], v8 offset:44000
	s_wait_dscnt 0x0
	v_add_f64_e64 v[56:57], v[13:14], -v[22:23]
	v_add_f64_e32 v[192:193], v[11:12], v[20:21]
	v_add_f64_e64 v[58:59], v[11:12], -v[20:21]
	v_add_f64_e32 v[194:195], v[13:14], v[22:23]
	v_add_f64_e32 v[11:12], v[72:73], v[68:69]
	v_add_f64_e64 v[72:73], v[20:21], -v[68:69]
	v_add_f64_e64 v[68:69], v[68:69], -v[20:21]
	v_fma_f64 v[46:47], v[36:37], s[12:13], v[50:51]
	v_fma_f64 v[32:33], v[36:37], s[14:15], v[32:33]
	;; [unrolled: 1-line block ×4, first 2 shown]
	v_add_f64_e32 v[13:14], v[74:75], v[70:71]
	v_add_f64_e64 v[74:75], v[22:23], -v[70:71]
	v_add_f64_e64 v[70:71], v[70:71], -v[22:23]
	v_fma_f64 v[140:141], v[192:193], -0.5, v[124:125]
	v_fma_f64 v[142:143], v[194:195], -0.5, v[126:127]
	v_add_f64_e32 v[156:157], v[11:12], v[20:21]
	v_add_f64_e32 v[54:55], v[30:31], v[68:69]
	v_fma_f64 v[36:37], v[28:29], s[16:17], v[46:47]
	v_fma_f64 v[40:41], v[28:29], s[16:17], v[32:33]
	;; [unrolled: 1-line block ×4, first 2 shown]
	v_add_f64_e32 v[28:29], v[52:53], v[72:73]
	v_fma_f64 v[46:47], v[56:57], s[18:19], v[144:145]
	v_fma_f64 v[48:49], v[58:59], s[20:21], v[146:147]
	;; [unrolled: 1-line block ×4, first 2 shown]
	v_add_f64_e32 v[158:159], v[13:14], v[22:23]
	ds_load_b128 v[128:131], v8 offset:6000
	ds_load_b128 v[11:14], v8 offset:16000
	;; [unrolled: 1-line block ×4, first 2 shown]
	v_add_f64_e32 v[32:33], v[62:63], v[74:75]
	v_add_f64_e32 v[60:61], v[60:61], v[70:71]
	s_wait_dscnt 0x2
	v_add_f64_e32 v[76:77], v[128:129], v[11:12]
	s_wait_dscnt 0x1
	v_add_f64_e64 v[82:83], v[11:12], -v[20:21]
	s_wait_dscnt 0x0
	v_add_f64_e32 v[196:197], v[20:21], v[92:93]
	v_add_f64_e64 v[78:79], v[22:23], -v[94:95]
	v_add_f64_e32 v[198:199], v[22:23], v[94:95]
	v_add_f64_e64 v[80:81], v[20:21], -v[92:93]
	v_add_f64_e64 v[90:91], v[13:14], -v[22:23]
	;; [unrolled: 1-line block ×3, first 2 shown]
	v_fma_f64 v[46:47], v[34:35], s[12:13], v[46:47]
	v_fma_f64 v[48:49], v[44:45], s[14:15], v[48:49]
	;; [unrolled: 1-line block ×4, first 2 shown]
	v_add_f64_e32 v[96:97], v[76:77], v[20:21]
	v_add_f64_e32 v[76:77], v[130:131], v[13:14]
	v_fma_f64 v[136:137], v[196:197], -0.5, v[128:129]
	v_fma_f64 v[138:139], v[198:199], -0.5, v[130:131]
	v_fma_f64 v[46:47], v[28:29], s[16:17], v[46:47]
	v_fma_f64 v[48:49], v[32:33], s[16:17], v[48:49]
	;; [unrolled: 1-line block ×8, first 2 shown]
	v_add_f64_e32 v[98:99], v[76:77], v[22:23]
	v_add_f64_e64 v[76:77], v[20:21], -v[11:12]
	ds_load_b128 v[20:23], v8 offset:46000
	v_fma_f64 v[28:29], v[56:57], s[12:13], v[28:29]
	v_fma_f64 v[32:33], v[56:57], s[14:15], v[32:33]
	;; [unrolled: 1-line block ×4, first 2 shown]
	s_wait_dscnt 0x0
	v_add_f64_e64 v[86:87], v[13:14], -v[22:23]
	v_add_f64_e32 v[200:201], v[11:12], v[20:21]
	v_add_f64_e64 v[88:89], v[11:12], -v[20:21]
	v_add_f64_e32 v[202:203], v[13:14], v[22:23]
	v_add_f64_e32 v[11:12], v[96:97], v[92:93]
	v_add_f64_e64 v[96:97], v[20:21], -v[92:93]
	v_add_f64_e64 v[92:93], v[92:93], -v[20:21]
	v_add_f64_e32 v[14:15], v[98:99], v[94:95]
	v_add_f64_e64 v[98:99], v[22:23], -v[94:95]
	v_add_f64_e64 v[94:95], v[94:95], -v[22:23]
	v_fma_f64 v[28:29], v[54:55], s[16:17], v[28:29]
	v_fma_f64 v[32:33], v[54:55], s[16:17], v[32:33]
	;; [unrolled: 1-line block ×8, first 2 shown]
	v_add_f64_e32 v[12:13], v[11:12], v[20:21]
	v_add_f64_e32 v[44:45], v[82:83], v[96:97]
	;; [unrolled: 1-line block ×3, first 2 shown]
	v_and_b32_e32 v11, 0xff, v10
	v_add_f64_e32 v[14:15], v[14:15], v[22:23]
	ds_load_b128 v[160:163], v8 offset:8000
	ds_load_b128 v[20:23], v8 offset:18000
	;; [unrolled: 1-line block ×5, first 2 shown]
	v_add_f64_e32 v[60:61], v[90:91], v[98:99]
	v_add_f64_e32 v[74:75], v[84:85], v[94:95]
	scratch_store_b32 off, v9, off offset:1056 ; 4-byte Folded Spill
	global_wb scope:SCOPE_SE
	s_wait_storecnt_dscnt 0x0
	s_barrier_signal -1
	s_barrier_wait -1
	global_inv scope:SCOPE_SE
	v_add_f64_e32 v[100:101], v[160:161], v[20:21]
	v_add_f64_e64 v[102:103], v[20:21], -v[110:111]
	v_add_f64_e32 v[204:205], v[110:111], v[120:121]
	v_add_f64_e64 v[108:109], v[110:111], -v[20:21]
	v_add_f64_e64 v[104:105], v[110:111], -v[120:121]
	;; [unrolled: 1-line block ×4, first 2 shown]
	v_add_f64_e32 v[210:211], v[22:23], v[134:135]
	v_add_f64_e32 v[206:207], v[112:113], v[122:123]
	;; [unrolled: 1-line block ×3, first 2 shown]
	v_fma_f64 v[54:55], v[78:79], s[12:13], v[54:55]
	v_fma_f64 v[58:59], v[78:79], s[14:15], v[58:59]
	;; [unrolled: 1-line block ×4, first 2 shown]
	v_add_f64_e32 v[114:115], v[100:101], v[110:111]
	v_add_f64_e32 v[100:101], v[162:163], v[22:23]
	v_add_f64_e64 v[110:111], v[22:23], -v[134:135]
	v_fma_f64 v[124:125], v[204:205], -0.5, v[160:161]
	v_fma_f64 v[126:127], v[206:207], -0.5, v[162:163]
	v_fma_f64 v[54:55], v[44:45], s[16:17], v[54:55]
	v_fma_f64 v[58:59], v[44:45], s[16:17], v[58:59]
	;; [unrolled: 1-line block ×4, first 2 shown]
	v_add_f64_e32 v[116:117], v[100:101], v[112:113]
	v_add_f64_e64 v[100:101], v[112:113], -v[122:123]
	v_add_f64_e64 v[112:113], v[20:21], -v[132:133]
	v_add_f64_e32 v[20:21], v[114:115], v[120:121]
	v_add_f64_e64 v[114:115], v[132:133], -v[120:121]
	v_add_f64_e64 v[120:121], v[120:121], -v[132:133]
	;; [unrolled: 3-line block ×3, first 2 shown]
	v_add_f64_e32 v[20:21], v[20:21], v[132:133]
	v_fma_f64 v[132:133], v[200:201], -0.5, v[128:129]
	v_fma_f64 v[128:129], v[208:209], -0.5, v[160:161]
	v_fma_f64 v[160:161], v[176:177], s[20:21], v[212:213]
	v_fma_f64 v[84:85], v[112:113], s[20:21], v[126:127]
	v_add_f64_e32 v[93:94], v[102:103], v[114:115]
	v_add_f64_e32 v[22:23], v[22:23], v[134:135]
	v_fma_f64 v[134:135], v[202:203], -0.5, v[130:131]
	v_fma_f64 v[130:131], v[210:211], -0.5, v[162:163]
	v_fma_f64 v[162:163], v[178:179], s[18:19], v[216:217]
	v_fma_f64 v[44:45], v[78:79], s[20:21], v[132:133]
	;; [unrolled: 1-line block ×4, first 2 shown]
	v_add_f64_e32 v[95:96], v[106:107], v[116:117]
	v_fma_f64 v[84:85], v[104:105], s[14:15], v[84:85]
	v_fma_f64 v[68:69], v[80:81], s[18:19], v[134:135]
	;; [unrolled: 1-line block ×18, first 2 shown]
	v_add_f64_e32 v[44:45], v[108:109], v[120:121]
	v_fma_f64 v[80:81], v[110:111], s[14:15], v[80:81]
	v_fma_f64 v[72:73], v[72:73], s[16:17], v[62:63]
	v_add_f64_e32 v[62:63], v[118:119], v[122:123]
	v_fma_f64 v[82:83], v[112:113], s[12:13], v[82:83]
	v_add_f64_e32 v[170:171], v[174:175], v[186:187]
	v_fma_f64 v[160:161], v[176:177], s[12:13], v[160:161]
	v_fma_f64 v[86:87], v[104:105], s[12:13], v[86:87]
	v_add_co_u32 v88, null, 0x1f4, v220
	v_fma_f64 v[70:71], v[74:75], s[16:17], v[76:77]
	v_fma_f64 v[76:77], v[100:101], s[20:21], v[128:129]
	;; [unrolled: 1-line block ×6, first 2 shown]
	v_and_b32_e32 v129, 0xffff, v88
	v_fma_f64 v[80:81], v[44:45], s[16:17], v[80:81]
	v_fma_f64 v[82:83], v[62:63], s[16:17], v[82:83]
	;; [unrolled: 1-line block ×5, first 2 shown]
	v_add_co_u32 v87, null, 0xfa, v220
	v_fma_f64 v[76:77], v[110:111], s[12:13], v[76:77]
	v_fma_f64 v[78:79], v[112:113], s[14:15], v[78:79]
	;; [unrolled: 1-line block ×4, first 2 shown]
	ds_store_b128 v9, v[0:3]
	ds_store_b128 v9, v[16:19] offset:16
	ds_store_b128 v9, v[160:163] offset:32
	;; [unrolled: 1-line block ×4, first 2 shown]
	v_fma_f64 v[76:77], v[44:45], s[16:17], v[76:77]
	v_fma_f64 v[44:45], v[110:111], s[18:19], v[124:125]
	;; [unrolled: 1-line block ×4, first 2 shown]
	v_add_co_u32 v164, null, 0x7d, v220
	v_add_co_u32 v9, null, 0x177, v220
	s_delay_alu instid0(VALU_DEP_2) | instskip(NEXT) | instid1(VALU_DEP_1)
	v_mul_u32_u24_e32 v0, 5, v164
	v_lshlrev_b32_e32 v0, 4, v0
	scratch_store_b32 off, v0, off offset:984 ; 4-byte Folded Spill
	ds_store_b128 v0, v[4:7]
	ds_store_b128 v0, v[64:67] offset:16
	ds_store_b128 v0, v[36:39] offset:32
	;; [unrolled: 1-line block ×4, first 2 shown]
	v_mul_u32_u24_e32 v0, 5, v87
	s_delay_alu instid0(VALU_DEP_1)
	v_lshlrev_b32_e32 v0, 4, v0
	scratch_store_b32 off, v0, off offset:916 ; 4-byte Folded Spill
	ds_store_b128 v0, v[156:159]
	ds_store_b128 v0, v[46:49] offset:16
	ds_store_b128 v0, v[28:31] offset:32
	ds_store_b128 v0, v[32:35] offset:48
	ds_store_b128 v0, v[50:53] offset:64
	v_mul_u32_u24_e32 v0, 5, v9
	s_delay_alu instid0(VALU_DEP_1)
	v_lshlrev_b32_e32 v0, 4, v0
	v_fma_f64 v[44:45], v[100:101], s[12:13], v[44:45]
	v_fma_f64 v[62:63], v[100:101], s[14:15], v[62:63]
	scratch_store_b32 off, v0, off offset:784 ; 4-byte Folded Spill
	ds_store_b128 v0, v[12:15]
	ds_store_b128 v0, v[54:57] offset:16
	ds_store_b128 v0, v[68:71] offset:32
	;; [unrolled: 1-line block ×4, first 2 shown]
	v_mul_u32_u24_e32 v0, 5, v88
	v_and_b32_e32 v60, 0xff, v164
	v_and_b32_e32 v69, 0xffff, v87
	;; [unrolled: 1-line block ×3, first 2 shown]
	s_delay_alu instid0(VALU_DEP_4)
	v_lshlrev_b32_e32 v0, 4, v0
	s_clause 0x1
	scratch_store_b32 off, v220, off offset:408
	scratch_store_b32 off, v0, off offset:716
	v_fma_f64 v[89:90], v[93:94], s[16:17], v[44:45]
	v_fma_f64 v[93:94], v[93:94], s[16:17], v[62:63]
	ds_store_b128 v0, v[20:23]
	ds_store_b128 v0, v[89:92] offset:16
	ds_store_b128 v0, v[76:79] offset:32
	;; [unrolled: 1-line block ×4, first 2 shown]
	v_mul_lo_u16 v0, 0xcd, v11
	global_wb scope:SCOPE_SE
	s_wait_storecnt_dscnt 0x0
	s_barrier_signal -1
	s_barrier_wait -1
	global_inv scope:SCOPE_SE
	v_lshrrev_b16 v65, 10, v0
	s_delay_alu instid0(VALU_DEP_1) | instskip(NEXT) | instid1(VALU_DEP_1)
	v_mul_lo_u16 v0, v65, 5
	v_sub_nc_u16 v0, v10, v0
	s_delay_alu instid0(VALU_DEP_1)
	v_and_b32_e32 v66, 0xff, v0
	ds_load_b128 v[0:3], v8 offset:10000
	v_lshlrev_b32_e32 v18, 6, v66
	s_clause 0x1
	global_load_b128 v[12:15], v18, s[10:11]
	global_load_b128 v[19:22], v18, s[10:11] offset:32
	s_wait_loadcnt_dscnt 0x100
	v_mul_f64_e32 v[4:5], v[2:3], v[14:15]
	scratch_store_b128 off, v[12:15], off offset:524 ; 16-byte Folded Spill
	s_wait_loadcnt 0x0
	scratch_store_b128 off, v[19:22], off offset:556 ; 16-byte Folded Spill
	v_fma_f64 v[4:5], v[0:1], v[12:13], -v[4:5]
	v_mul_f64_e32 v[0:1], v[0:1], v[14:15]
	global_load_b128 v[14:17], v18, s[10:11] offset:16
	v_fma_f64 v[6:7], v[2:3], v[12:13], v[0:1]
	ds_load_b128 v[0:3], v8 offset:20000
	s_wait_loadcnt_dscnt 0x0
	v_mul_f64_e32 v[12:13], v[2:3], v[16:17]
	scratch_store_b128 off, v[14:17], off offset:540 ; 16-byte Folded Spill
	v_fma_f64 v[12:13], v[0:1], v[14:15], -v[12:13]
	v_mul_f64_e32 v[0:1], v[0:1], v[16:17]
	s_delay_alu instid0(VALU_DEP_1) | instskip(SKIP_3) | instid1(VALU_DEP_1)
	v_fma_f64 v[14:15], v[2:3], v[14:15], v[0:1]
	ds_load_b128 v[0:3], v8 offset:30000
	s_wait_dscnt 0x0
	v_mul_f64_e32 v[16:17], v[2:3], v[21:22]
	v_fma_f64 v[56:57], v[0:1], v[19:20], -v[16:17]
	v_mul_f64_e32 v[0:1], v[0:1], v[21:22]
	s_delay_alu instid0(VALU_DEP_2) | instskip(NEXT) | instid1(VALU_DEP_2)
	v_add_f64_e64 v[89:90], v[12:13], -v[56:57]
	v_fma_f64 v[58:59], v[2:3], v[19:20], v[0:1]
	global_load_b128 v[18:21], v18, s[10:11] offset:48
	ds_load_b128 v[0:3], v8 offset:40000
	v_add_f64_e64 v[83:84], v[14:15], -v[58:59]
	s_wait_loadcnt_dscnt 0x0
	v_mul_f64_e32 v[16:17], v[2:3], v[20:21]
	scratch_store_b128 off, v[18:21], off offset:572 ; 16-byte Folded Spill
	v_fma_f64 v[70:71], v[0:1], v[18:19], -v[16:17]
	v_mul_f64_e32 v[0:1], v[0:1], v[20:21]
	s_delay_alu instid0(VALU_DEP_2) | instskip(NEXT) | instid1(VALU_DEP_2)
	v_add_f64_e64 v[85:86], v[4:5], -v[70:71]
	v_fma_f64 v[79:80], v[2:3], v[18:19], v[0:1]
	v_mul_lo_u16 v0, 0xcd, v60
	s_delay_alu instid0(VALU_DEP_1) | instskip(NEXT) | instid1(VALU_DEP_1)
	v_lshrrev_b16 v67, 10, v0
	v_mul_lo_u16 v0, v67, 5
	s_delay_alu instid0(VALU_DEP_1) | instskip(NEXT) | instid1(VALU_DEP_1)
	v_sub_nc_u16 v0, v164, v0
	v_and_b32_e32 v72, 0xff, v0
	ds_load_b128 v[0:3], v8 offset:12000
	v_lshlrev_b32_e32 v18, 6, v72
	global_load_b128 v[19:22], v18, s[10:11]
	v_add_f64_e64 v[81:82], v[6:7], -v[79:80]
	s_wait_loadcnt_dscnt 0x0
	v_mul_f64_e32 v[16:17], v[2:3], v[21:22]
	scratch_store_b128 off, v[19:22], off offset:588 ; 16-byte Folded Spill
	v_fma_f64 v[97:98], v[0:1], v[19:20], -v[16:17]
	v_mul_f64_e32 v[0:1], v[0:1], v[21:22]
	s_delay_alu instid0(VALU_DEP_1)
	v_fma_f64 v[99:100], v[2:3], v[19:20], v[0:1]
	global_load_b128 v[19:22], v18, s[10:11] offset:16
	ds_load_b128 v[0:3], v8 offset:22000
	s_wait_loadcnt_dscnt 0x0
	v_mul_f64_e32 v[16:17], v[2:3], v[21:22]
	scratch_store_b128 off, v[19:22], off offset:604 ; 16-byte Folded Spill
	v_fma_f64 v[101:102], v[0:1], v[19:20], -v[16:17]
	v_mul_f64_e32 v[0:1], v[0:1], v[21:22]
	s_delay_alu instid0(VALU_DEP_1)
	v_fma_f64 v[103:104], v[2:3], v[19:20], v[0:1]
	global_load_b128 v[19:22], v18, s[10:11] offset:32
	ds_load_b128 v[0:3], v8 offset:32000
	s_wait_loadcnt_dscnt 0x0
	v_mul_f64_e32 v[16:17], v[2:3], v[21:22]
	scratch_store_b128 off, v[19:22], off offset:620 ; 16-byte Folded Spill
	v_fma_f64 v[105:106], v[0:1], v[19:20], -v[16:17]
	v_mul_f64_e32 v[0:1], v[0:1], v[21:22]
	s_delay_alu instid0(VALU_DEP_2) | instskip(NEXT) | instid1(VALU_DEP_2)
	v_add_f64_e64 v[132:133], v[101:102], -v[105:106]
	v_fma_f64 v[107:108], v[2:3], v[19:20], v[0:1]
	global_load_b128 v[18:21], v18, s[10:11] offset:48
	ds_load_b128 v[0:3], v8 offset:42000
	s_wait_loadcnt_dscnt 0x0
	v_mul_f64_e32 v[16:17], v[2:3], v[20:21]
	scratch_store_b128 off, v[18:21], off offset:636 ; 16-byte Folded Spill
	v_fma_f64 v[109:110], v[0:1], v[18:19], -v[16:17]
	v_mul_f64_e32 v[0:1], v[0:1], v[20:21]
	s_delay_alu instid0(VALU_DEP_2) | instskip(NEXT) | instid1(VALU_DEP_2)
	v_add_f64_e64 v[130:131], v[97:98], -v[109:110]
	v_fma_f64 v[111:112], v[2:3], v[18:19], v[0:1]
	v_mul_u32_u24_e32 v0, 0xcccd, v69
	s_delay_alu instid0(VALU_DEP_1) | instskip(NEXT) | instid1(VALU_DEP_1)
	v_lshrrev_b32_e32 v73, 18, v0
	v_mul_lo_u16 v0, v73, 5
	s_delay_alu instid0(VALU_DEP_1) | instskip(NEXT) | instid1(VALU_DEP_1)
	v_sub_nc_u16 v74, v87, v0
	v_lshlrev_b16 v0, 2, v74
	s_delay_alu instid0(VALU_DEP_1) | instskip(NEXT) | instid1(VALU_DEP_1)
	v_and_b32_e32 v0, 0xffff, v0
	v_lshlrev_b32_e32 v18, 4, v0
	ds_load_b128 v[0:3], v8 offset:14000
	global_load_b128 v[19:22], v18, s[10:11]
	s_wait_loadcnt_dscnt 0x0
	v_mul_f64_e32 v[16:17], v[2:3], v[21:22]
	scratch_store_b128 off, v[19:22], off offset:652 ; 16-byte Folded Spill
	v_fma_f64 v[113:114], v[0:1], v[19:20], -v[16:17]
	v_mul_f64_e32 v[0:1], v[0:1], v[21:22]
	s_delay_alu instid0(VALU_DEP_1)
	v_fma_f64 v[115:116], v[2:3], v[19:20], v[0:1]
	global_load_b128 v[19:22], v18, s[10:11] offset:16
	ds_load_b128 v[0:3], v8 offset:24000
	s_wait_loadcnt_dscnt 0x0
	v_mul_f64_e32 v[16:17], v[2:3], v[21:22]
	scratch_store_b128 off, v[19:22], off offset:668 ; 16-byte Folded Spill
	v_fma_f64 v[117:118], v[0:1], v[19:20], -v[16:17]
	v_mul_f64_e32 v[0:1], v[0:1], v[21:22]
	s_delay_alu instid0(VALU_DEP_1)
	v_fma_f64 v[119:120], v[2:3], v[19:20], v[0:1]
	global_load_b128 v[19:22], v18, s[10:11] offset:32
	ds_load_b128 v[0:3], v8 offset:34000
	;; [unrolled: 9-line block ×3, first 2 shown]
	s_wait_loadcnt_dscnt 0x0
	v_mul_f64_e32 v[16:17], v[2:3], v[20:21]
	scratch_store_b128 off, v[18:21], off offset:700 ; 16-byte Folded Spill
	v_fma_f64 v[125:126], v[0:1], v[18:19], -v[16:17]
	v_mul_f64_e32 v[0:1], v[0:1], v[20:21]
	s_delay_alu instid0(VALU_DEP_1) | instskip(SKIP_1) | instid1(VALU_DEP_1)
	v_fma_f64 v[127:128], v[2:3], v[18:19], v[0:1]
	v_mul_u32_u24_e32 v0, 0xcccd, v68
	v_lshrrev_b32_e32 v61, 18, v0
	s_delay_alu instid0(VALU_DEP_1) | instskip(NEXT) | instid1(VALU_DEP_1)
	v_mul_lo_u16 v0, v61, 5
	v_sub_nc_u16 v62, v9, v0
	s_delay_alu instid0(VALU_DEP_1) | instskip(NEXT) | instid1(VALU_DEP_1)
	v_lshlrev_b16 v0, 2, v62
	v_and_b32_e32 v0, 0xffff, v0
	s_delay_alu instid0(VALU_DEP_1)
	v_lshlrev_b32_e32 v18, 4, v0
	ds_load_b128 v[0:3], v8 offset:16000
	global_load_b128 v[19:22], v18, s[10:11]
	s_wait_loadcnt_dscnt 0x0
	v_mul_f64_e32 v[16:17], v[2:3], v[21:22]
	scratch_store_b128 off, v[19:22], off offset:720 ; 16-byte Folded Spill
	v_fma_f64 v[26:27], v[0:1], v[19:20], -v[16:17]
	v_mul_f64_e32 v[0:1], v[0:1], v[21:22]
	s_delay_alu instid0(VALU_DEP_1)
	v_fma_f64 v[24:25], v[2:3], v[19:20], v[0:1]
	global_load_b128 v[19:22], v18, s[10:11] offset:16
	ds_load_b128 v[0:3], v8 offset:26000
	s_wait_loadcnt_dscnt 0x0
	v_mul_f64_e32 v[16:17], v[2:3], v[21:22]
	scratch_store_b128 off, v[19:22], off offset:736 ; 16-byte Folded Spill
	v_fma_f64 v[34:35], v[0:1], v[19:20], -v[16:17]
	v_mul_f64_e32 v[0:1], v[0:1], v[21:22]
	s_delay_alu instid0(VALU_DEP_2) | instskip(NEXT) | instid1(VALU_DEP_2)
	v_add_f64_e64 v[136:137], v[34:35], -v[26:27]
	v_fma_f64 v[28:29], v[2:3], v[19:20], v[0:1]
	global_load_b128 v[19:22], v18, s[10:11] offset:32
	ds_load_b128 v[0:3], v8 offset:36000
	s_wait_loadcnt_dscnt 0x0
	v_mul_f64_e32 v[16:17], v[2:3], v[21:22]
	scratch_store_b128 off, v[19:22], off offset:752 ; 16-byte Folded Spill
	v_fma_f64 v[32:33], v[0:1], v[19:20], -v[16:17]
	v_mul_f64_e32 v[0:1], v[0:1], v[21:22]
	s_delay_alu instid0(VALU_DEP_2) | instskip(NEXT) | instid1(VALU_DEP_2)
	v_add_f64_e64 v[134:135], v[34:35], -v[32:33]
	v_fma_f64 v[30:31], v[2:3], v[19:20], v[0:1]
	global_load_b128 v[18:21], v18, s[10:11] offset:48
	ds_load_b128 v[0:3], v8 offset:46000
	s_wait_loadcnt_dscnt 0x0
	v_mul_f64_e32 v[16:17], v[2:3], v[20:21]
	scratch_store_b128 off, v[18:21], off offset:768 ; 16-byte Folded Spill
	v_fma_f64 v[52:53], v[0:1], v[18:19], -v[16:17]
	v_mul_f64_e32 v[0:1], v[0:1], v[20:21]
	s_delay_alu instid0(VALU_DEP_1) | instskip(SKIP_1) | instid1(VALU_DEP_1)
	v_fma_f64 v[54:55], v[2:3], v[18:19], v[0:1]
	v_mul_u32_u24_e32 v0, 0xcccd, v129
	v_lshrrev_b32_e32 v63, 18, v0
	s_delay_alu instid0(VALU_DEP_1) | instskip(NEXT) | instid1(VALU_DEP_1)
	v_mul_lo_u16 v0, v63, 5
	v_sub_nc_u16 v64, v88, v0
	s_delay_alu instid0(VALU_DEP_1) | instskip(NEXT) | instid1(VALU_DEP_1)
	v_lshlrev_b16 v0, 2, v64
	v_and_b32_e32 v0, 0xffff, v0
	s_delay_alu instid0(VALU_DEP_1)
	v_lshlrev_b32_e32 v18, 4, v0
	ds_load_b128 v[0:3], v8 offset:18000
	global_load_b128 v[19:22], v18, s[10:11]
	s_wait_loadcnt_dscnt 0x0
	v_mul_f64_e32 v[16:17], v[2:3], v[21:22]
	scratch_store_b128 off, v[19:22], off offset:788 ; 16-byte Folded Spill
	v_fma_f64 v[38:39], v[0:1], v[19:20], -v[16:17]
	v_mul_f64_e32 v[0:1], v[0:1], v[21:22]
	s_delay_alu instid0(VALU_DEP_1)
	v_fma_f64 v[36:37], v[2:3], v[19:20], v[0:1]
	global_load_b128 v[19:22], v18, s[10:11] offset:16
	ds_load_b128 v[0:3], v8 offset:28000
	s_wait_loadcnt_dscnt 0x0
	v_mul_f64_e32 v[16:17], v[2:3], v[21:22]
	scratch_store_b128 off, v[19:22], off offset:804 ; 16-byte Folded Spill
	v_fma_f64 v[46:47], v[0:1], v[19:20], -v[16:17]
	v_mul_f64_e32 v[0:1], v[0:1], v[21:22]
	s_delay_alu instid0(VALU_DEP_2) | instskip(NEXT) | instid1(VALU_DEP_2)
	v_add_f64_e64 v[140:141], v[46:47], -v[38:39]
	v_fma_f64 v[40:41], v[2:3], v[19:20], v[0:1]
	global_load_b128 v[19:22], v18, s[10:11] offset:32
	ds_load_b128 v[0:3], v8 offset:38000
	s_wait_loadcnt_dscnt 0x0
	v_mul_f64_e32 v[16:17], v[2:3], v[21:22]
	scratch_store_b128 off, v[19:22], off offset:820 ; 16-byte Folded Spill
	v_fma_f64 v[44:45], v[0:1], v[19:20], -v[16:17]
	v_mul_f64_e32 v[0:1], v[0:1], v[21:22]
	s_delay_alu instid0(VALU_DEP_2) | instskip(NEXT) | instid1(VALU_DEP_2)
	v_add_f64_e64 v[138:139], v[46:47], -v[44:45]
	v_fma_f64 v[42:43], v[2:3], v[19:20], v[0:1]
	global_load_b128 v[18:21], v18, s[10:11] offset:48
	ds_load_b128 v[0:3], v8 offset:48000
	s_wait_loadcnt_dscnt 0x0
	v_mul_f64_e32 v[16:17], v[2:3], v[20:21]
	scratch_store_b128 off, v[18:21], off offset:836 ; 16-byte Folded Spill
	v_fma_f64 v[48:49], v[0:1], v[18:19], -v[16:17]
	v_mul_f64_e32 v[0:1], v[0:1], v[20:21]
	v_add_f64_e32 v[20:21], v[12:13], v[56:57]
	s_delay_alu instid0(VALU_DEP_2) | instskip(SKIP_2) | instid1(VALU_DEP_1)
	v_fma_f64 v[50:51], v[2:3], v[18:19], v[0:1]
	v_add_f64_e64 v[0:1], v[4:5], -v[12:13]
	v_add_f64_e64 v[2:3], v[70:71], -v[56:57]
	v_add_f64_e32 v[16:17], v[0:1], v[2:3]
	v_add_f64_e64 v[0:1], v[6:7], -v[14:15]
	v_add_f64_e64 v[2:3], v[79:80], -v[58:59]
	s_delay_alu instid0(VALU_DEP_1) | instskip(SKIP_4) | instid1(VALU_DEP_1)
	v_add_f64_e32 v[18:19], v[0:1], v[2:3]
	ds_load_b128 v[0:3], v8
	s_wait_dscnt 0x0
	v_fma_f64 v[75:76], v[20:21], -0.5, v[0:1]
	v_add_f64_e32 v[20:21], v[14:15], v[58:59]
	v_fma_f64 v[77:78], v[20:21], -0.5, v[2:3]
	s_delay_alu instid0(VALU_DEP_3) | instskip(SKIP_1) | instid1(VALU_DEP_3)
	v_fma_f64 v[20:21], v[81:82], s[18:19], v[75:76]
	v_fma_f64 v[75:76], v[81:82], s[20:21], v[75:76]
	;; [unrolled: 1-line block ×3, first 2 shown]
	s_delay_alu instid0(VALU_DEP_3) | instskip(NEXT) | instid1(VALU_DEP_3)
	v_fma_f64 v[20:21], v[83:84], s[12:13], v[20:21]
	v_fma_f64 v[75:76], v[83:84], s[14:15], v[75:76]
	;; [unrolled: 1-line block ×3, first 2 shown]
	s_delay_alu instid0(VALU_DEP_4) | instskip(NEXT) | instid1(VALU_DEP_4)
	v_fma_f64 v[22:23], v[89:90], s[14:15], v[22:23]
	v_fma_f64 v[20:21], v[16:17], s[16:17], v[20:21]
	s_delay_alu instid0(VALU_DEP_4) | instskip(SKIP_3) | instid1(VALU_DEP_3)
	v_fma_f64 v[16:17], v[16:17], s[16:17], v[75:76]
	v_add_f64_e32 v[75:76], v[4:5], v[70:71]
	v_fma_f64 v[77:78], v[89:90], s[12:13], v[77:78]
	v_fma_f64 v[22:23], v[18:19], s[16:17], v[22:23]
	v_fma_f64 v[91:92], v[75:76], -0.5, v[0:1]
	v_add_f64_e32 v[75:76], v[6:7], v[79:80]
	v_add_f64_e32 v[0:1], v[0:1], v[4:5]
	v_fma_f64 v[18:19], v[18:19], s[16:17], v[77:78]
	v_add_f64_e64 v[4:5], v[12:13], -v[4:5]
	s_delay_alu instid0(VALU_DEP_4) | instskip(SKIP_4) | instid1(VALU_DEP_4)
	v_fma_f64 v[93:94], v[75:76], -0.5, v[2:3]
	v_add_f64_e32 v[2:3], v[2:3], v[6:7]
	v_add_f64_e32 v[0:1], v[0:1], v[12:13]
	v_add_f64_e64 v[6:7], v[14:15], -v[6:7]
	v_add_f64_e64 v[12:13], v[56:57], -v[70:71]
	v_add_f64_e32 v[2:3], v[2:3], v[14:15]
	s_delay_alu instid0(VALU_DEP_4)
	v_add_f64_e32 v[0:1], v[0:1], v[56:57]
	v_fma_f64 v[14:15], v[83:84], s[18:19], v[91:92]
	v_fma_f64 v[56:57], v[89:90], s[18:19], v[93:94]
	v_add_f64_e32 v[4:5], v[4:5], v[12:13]
	v_add_f64_e32 v[2:3], v[2:3], v[58:59]
	;; [unrolled: 1-line block ×3, first 2 shown]
	v_add_f64_e64 v[0:1], v[58:59], -v[79:80]
	v_fma_f64 v[58:59], v[89:90], s[20:21], v[93:94]
	v_fma_f64 v[12:13], v[85:86], s[14:15], v[56:57]
	v_add_f64_e64 v[56:57], v[99:100], -v[111:112]
	v_add_f64_e32 v[77:78], v[2:3], v[79:80]
	v_fma_f64 v[2:3], v[83:84], s[20:21], v[91:92]
	v_add_f64_e32 v[0:1], v[6:7], v[0:1]
	v_fma_f64 v[6:7], v[81:82], s[14:15], v[14:15]
	v_fma_f64 v[14:15], v[85:86], s[12:13], v[58:59]
	v_add_f64_e64 v[58:59], v[103:104], -v[107:108]
	v_fma_f64 v[2:3], v[81:82], s[12:13], v[2:3]
	v_fma_f64 v[81:82], v[0:1], s[16:17], v[12:13]
	;; [unrolled: 1-line block ×4, first 2 shown]
	v_add_f64_e64 v[0:1], v[97:98], -v[101:102]
	v_add_f64_e32 v[12:13], v[101:102], v[105:106]
	v_add_f64_e32 v[14:15], v[103:104], v[107:108]
	v_fma_f64 v[79:80], v[4:5], s[16:17], v[2:3]
	v_add_f64_e64 v[2:3], v[109:110], -v[105:106]
	s_delay_alu instid0(VALU_DEP_1) | instskip(SKIP_2) | instid1(VALU_DEP_1)
	v_add_f64_e32 v[4:5], v[0:1], v[2:3]
	v_add_f64_e64 v[0:1], v[99:100], -v[103:104]
	v_add_f64_e64 v[2:3], v[111:112], -v[107:108]
	v_add_f64_e32 v[6:7], v[0:1], v[2:3]
	ds_load_b128 v[0:3], v8 offset:2000
	s_wait_dscnt 0x0
	v_fma_f64 v[12:13], v[12:13], -0.5, v[0:1]
	v_fma_f64 v[14:15], v[14:15], -0.5, v[2:3]
	s_delay_alu instid0(VALU_DEP_2) | instskip(NEXT) | instid1(VALU_DEP_2)
	v_fma_f64 v[70:71], v[56:57], s[18:19], v[12:13]
	v_fma_f64 v[89:90], v[130:131], s[20:21], v[14:15]
	;; [unrolled: 1-line block ×4, first 2 shown]
	s_delay_alu instid0(VALU_DEP_4) | instskip(NEXT) | instid1(VALU_DEP_4)
	v_fma_f64 v[70:71], v[58:59], s[12:13], v[70:71]
	v_fma_f64 v[91:92], v[132:133], s[14:15], v[89:90]
	s_delay_alu instid0(VALU_DEP_4) | instskip(NEXT) | instid1(VALU_DEP_4)
	v_fma_f64 v[12:13], v[58:59], s[14:15], v[12:13]
	v_fma_f64 v[14:15], v[132:133], s[12:13], v[14:15]
	;; [unrolled: 3-line block ×4, first 2 shown]
	v_add_f64_e32 v[4:5], v[97:98], v[109:110]
	v_add_f64_e32 v[6:7], v[99:100], v[111:112]
	v_add_f64_e64 v[12:13], v[101:102], -v[97:98]
	v_add_f64_e64 v[14:15], v[103:104], -v[99:100]
	;; [unrolled: 1-line block ×3, first 2 shown]
	v_fma_f64 v[4:5], v[4:5], -0.5, v[0:1]
	v_fma_f64 v[6:7], v[6:7], -0.5, v[2:3]
	v_add_f64_e32 v[0:1], v[0:1], v[97:98]
	v_add_f64_e32 v[2:3], v[2:3], v[99:100]
	;; [unrolled: 1-line block ×3, first 2 shown]
	s_delay_alu instid0(VALU_DEP_3) | instskip(NEXT) | instid1(VALU_DEP_3)
	v_add_f64_e32 v[0:1], v[0:1], v[101:102]
	v_add_f64_e32 v[2:3], v[2:3], v[103:104]
	s_delay_alu instid0(VALU_DEP_2) | instskip(NEXT) | instid1(VALU_DEP_2)
	v_add_f64_e32 v[0:1], v[0:1], v[105:106]
	v_add_f64_e32 v[2:3], v[2:3], v[107:108]
	s_delay_alu instid0(VALU_DEP_2) | instskip(NEXT) | instid1(VALU_DEP_2)
	v_add_f64_e32 v[97:98], v[0:1], v[109:110]
	v_add_f64_e32 v[99:100], v[2:3], v[111:112]
	v_add_f64_e64 v[0:1], v[107:108], -v[111:112]
	v_fma_f64 v[2:3], v[58:59], s[20:21], v[4:5]
	v_fma_f64 v[4:5], v[58:59], s[18:19], v[4:5]
	;; [unrolled: 1-line block ×4, first 2 shown]
	v_add_f64_e64 v[132:133], v[117:118], -v[121:122]
	v_add_f64_e32 v[0:1], v[14:15], v[0:1]
	v_fma_f64 v[2:3], v[56:57], s[12:13], v[2:3]
	v_fma_f64 v[4:5], v[56:57], s[14:15], v[4:5]
	;; [unrolled: 1-line block ×4, first 2 shown]
	v_add_f64_e64 v[56:57], v[115:116], -v[127:128]
	v_add_f64_e64 v[130:131], v[113:114], -v[125:126]
	;; [unrolled: 1-line block ×3, first 2 shown]
	v_fma_f64 v[101:102], v[12:13], s[16:17], v[2:3]
	v_add_f64_e64 v[2:3], v[125:126], -v[121:122]
	v_fma_f64 v[103:104], v[0:1], s[16:17], v[14:15]
	v_fma_f64 v[107:108], v[0:1], s[16:17], v[6:7]
	v_add_f64_e64 v[0:1], v[113:114], -v[117:118]
	v_fma_f64 v[105:106], v[12:13], s[16:17], v[4:5]
	v_add_f64_e64 v[4:5], v[127:128], -v[123:124]
	v_add_f64_e32 v[12:13], v[117:118], v[121:122]
	v_add_f64_e32 v[14:15], v[119:120], v[123:124]
	v_add_f64_e32 v[0:1], v[0:1], v[2:3]
	v_add_f64_e64 v[2:3], v[115:116], -v[119:120]
	s_delay_alu instid0(VALU_DEP_1) | instskip(SKIP_4) | instid1(VALU_DEP_2)
	v_add_f64_e32 v[2:3], v[2:3], v[4:5]
	ds_load_b128 v[4:7], v8 offset:4000
	s_wait_dscnt 0x0
	v_fma_f64 v[12:13], v[12:13], -0.5, v[4:5]
	v_fma_f64 v[14:15], v[14:15], -0.5, v[6:7]
	v_fma_f64 v[70:71], v[56:57], s[18:19], v[12:13]
	s_delay_alu instid0(VALU_DEP_2) | instskip(SKIP_2) | instid1(VALU_DEP_4)
	v_fma_f64 v[109:110], v[130:131], s[20:21], v[14:15]
	v_fma_f64 v[12:13], v[56:57], s[20:21], v[12:13]
	;; [unrolled: 1-line block ×4, first 2 shown]
	s_delay_alu instid0(VALU_DEP_4) | instskip(NEXT) | instid1(VALU_DEP_4)
	v_fma_f64 v[111:112], v[132:133], s[14:15], v[109:110]
	v_fma_f64 v[12:13], v[58:59], s[14:15], v[12:13]
	s_delay_alu instid0(VALU_DEP_4) | instskip(NEXT) | instid1(VALU_DEP_4)
	v_fma_f64 v[14:15], v[132:133], s[12:13], v[14:15]
	v_fma_f64 v[109:110], v[0:1], s[16:17], v[70:71]
	;; [unrolled: 3-line block ×3, first 2 shown]
	s_delay_alu instid0(VALU_DEP_4) | instskip(SKIP_3) | instid1(VALU_DEP_3)
	v_fma_f64 v[2:3], v[2:3], s[16:17], v[14:15]
	v_add_f64_e32 v[12:13], v[113:114], v[125:126]
	v_add_f64_e32 v[14:15], v[115:116], v[127:128]
	v_add_f64_e64 v[70:71], v[117:118], -v[113:114]
	v_fma_f64 v[12:13], v[12:13], -0.5, v[4:5]
	s_delay_alu instid0(VALU_DEP_3) | instskip(SKIP_2) | instid1(VALU_DEP_2)
	v_fma_f64 v[14:15], v[14:15], -0.5, v[6:7]
	v_add_f64_e32 v[4:5], v[4:5], v[113:114]
	v_add_f64_e32 v[6:7], v[6:7], v[115:116]
	;; [unrolled: 1-line block ×3, first 2 shown]
	s_delay_alu instid0(VALU_DEP_2) | instskip(SKIP_2) | instid1(VALU_DEP_4)
	v_add_f64_e32 v[6:7], v[6:7], v[119:120]
	v_add_f64_e64 v[117:118], v[119:120], -v[115:116]
	v_add_f64_e64 v[119:120], v[121:122], -v[125:126]
	v_add_f64_e32 v[4:5], v[4:5], v[121:122]
	s_delay_alu instid0(VALU_DEP_4) | instskip(NEXT) | instid1(VALU_DEP_3)
	v_add_f64_e32 v[6:7], v[6:7], v[123:124]
	v_add_f64_e32 v[70:71], v[70:71], v[119:120]
	s_delay_alu instid0(VALU_DEP_3) | instskip(NEXT) | instid1(VALU_DEP_3)
	v_add_f64_e32 v[113:114], v[4:5], v[125:126]
	v_add_f64_e32 v[115:116], v[6:7], v[127:128]
	v_add_f64_e64 v[4:5], v[123:124], -v[127:128]
	v_fma_f64 v[6:7], v[58:59], s[20:21], v[12:13]
	v_fma_f64 v[12:13], v[58:59], s[18:19], v[12:13]
	;; [unrolled: 1-line block ×4, first 2 shown]
	v_add_f64_e64 v[127:128], v[24:25], -v[54:55]
	v_add_f64_e64 v[132:133], v[26:27], -v[52:53]
	v_add_f64_e32 v[121:122], v[117:118], v[4:5]
	v_fma_f64 v[4:5], v[56:57], s[12:13], v[6:7]
	v_fma_f64 v[6:7], v[56:57], s[14:15], v[12:13]
	;; [unrolled: 1-line block ×4, first 2 shown]
	v_add_f64_e64 v[56:57], v[54:55], -v[30:31]
	v_add_f64_e64 v[130:131], v[28:29], -v[30:31]
	v_fma_f64 v[117:118], v[70:71], s[16:17], v[4:5]
	v_fma_f64 v[4:5], v[70:71], s[16:17], v[6:7]
	;; [unrolled: 1-line block ×4, first 2 shown]
	v_add_f64_e64 v[12:13], v[26:27], -v[34:35]
	v_add_f64_e64 v[14:15], v[52:53], -v[32:33]
	ds_load_b128 v[121:124], v8 offset:6000
	v_add_f64_e32 v[12:13], v[12:13], v[14:15]
	v_add_f64_e64 v[14:15], v[24:25], -v[28:29]
	s_delay_alu instid0(VALU_DEP_1) | instskip(SKIP_2) | instid1(VALU_DEP_1)
	v_add_f64_e32 v[14:15], v[14:15], v[56:57]
	v_add_f64_e32 v[56:57], v[34:35], v[32:33]
	s_wait_dscnt 0x0
	v_fma_f64 v[70:71], v[56:57], -0.5, v[121:122]
	v_add_f64_e32 v[56:57], v[28:29], v[30:31]
	s_delay_alu instid0(VALU_DEP_1) | instskip(NEXT) | instid1(VALU_DEP_3)
	v_fma_f64 v[125:126], v[56:57], -0.5, v[123:124]
	v_fma_f64 v[56:57], v[127:128], s[18:19], v[70:71]
	v_fma_f64 v[70:71], v[127:128], s[20:21], v[70:71]
	s_delay_alu instid0(VALU_DEP_3) | instskip(NEXT) | instid1(VALU_DEP_3)
	v_fma_f64 v[58:59], v[132:133], s[20:21], v[125:126]
	v_fma_f64 v[56:57], v[130:131], s[12:13], v[56:57]
	;; [unrolled: 1-line block ×3, first 2 shown]
	s_delay_alu instid0(VALU_DEP_4) | instskip(NEXT) | instid1(VALU_DEP_4)
	v_fma_f64 v[70:71], v[130:131], s[14:15], v[70:71]
	v_fma_f64 v[58:59], v[134:135], s[14:15], v[58:59]
	s_delay_alu instid0(VALU_DEP_4) | instskip(NEXT) | instid1(VALU_DEP_4)
	v_fma_f64 v[56:57], v[12:13], s[16:17], v[56:57]
	v_fma_f64 v[125:126], v[134:135], s[12:13], v[125:126]
	s_delay_alu instid0(VALU_DEP_4) | instskip(SKIP_2) | instid1(VALU_DEP_4)
	v_fma_f64 v[12:13], v[12:13], s[16:17], v[70:71]
	v_add_f64_e32 v[70:71], v[26:27], v[52:53]
	v_fma_f64 v[58:59], v[14:15], s[16:17], v[58:59]
	v_fma_f64 v[14:15], v[14:15], s[16:17], v[125:126]
	v_add_f64_e32 v[125:126], v[24:25], v[54:55]
	s_delay_alu instid0(VALU_DEP_4) | instskip(SKIP_1) | instid1(VALU_DEP_3)
	v_fma_f64 v[70:71], v[70:71], -0.5, v[121:122]
	v_add_f64_e32 v[121:122], v[121:122], v[26:27]
	v_fma_f64 v[125:126], v[125:126], -0.5, v[123:124]
	v_add_f64_e32 v[123:124], v[123:124], v[24:25]
	s_delay_alu instid0(VALU_DEP_3) | instskip(NEXT) | instid1(VALU_DEP_2)
	v_add_f64_e32 v[26:27], v[121:122], v[34:35]
	v_add_f64_e32 v[34:35], v[123:124], v[28:29]
	v_add_f64_e64 v[28:29], v[28:29], -v[24:25]
	s_delay_alu instid0(VALU_DEP_3) | instskip(SKIP_1) | instid1(VALU_DEP_4)
	v_add_f64_e32 v[24:25], v[26:27], v[32:33]
	v_add_f64_e64 v[32:33], v[32:33], -v[52:53]
	v_add_f64_e32 v[26:27], v[34:35], v[30:31]
	v_add_f64_e64 v[30:31], v[30:31], -v[54:55]
	s_delay_alu instid0(VALU_DEP_4)
	v_add_f64_e32 v[24:25], v[24:25], v[52:53]
	v_fma_f64 v[34:35], v[130:131], s[20:21], v[70:71]
	v_fma_f64 v[52:53], v[130:131], s[18:19], v[70:71]
	v_fma_f64 v[70:71], v[134:135], s[20:21], v[125:126]
	v_add_f64_e32 v[32:33], v[136:137], v[32:33]
	v_add_f64_e64 v[136:137], v[38:39], -v[48:49]
	v_add_f64_e32 v[26:27], v[26:27], v[54:55]
	v_fma_f64 v[54:55], v[134:135], s[18:19], v[125:126]
	v_add_f64_e32 v[121:122], v[28:29], v[30:31]
	v_fma_f64 v[28:29], v[127:128], s[12:13], v[34:35]
	v_fma_f64 v[34:35], v[127:128], s[14:15], v[52:53]
	;; [unrolled: 1-line block ×3, first 2 shown]
	v_add_f64_e64 v[134:135], v[40:41], -v[42:43]
	v_fma_f64 v[30:31], v[132:133], s[14:15], v[54:55]
	v_add_f64_e64 v[54:55], v[48:49], -v[44:45]
	v_fma_f64 v[28:29], v[32:33], s[16:17], v[28:29]
	v_fma_f64 v[32:33], v[32:33], s[16:17], v[34:35]
	v_fma_f64 v[34:35], v[121:122], s[16:17], v[52:53]
	v_add_f64_e64 v[52:53], v[38:39], -v[46:47]
	v_add_f64_e64 v[132:133], v[36:37], -v[50:51]
	v_fma_f64 v[30:31], v[121:122], s[16:17], v[30:31]
	v_add_f64_e32 v[121:122], v[46:47], v[44:45]
	s_delay_alu instid0(VALU_DEP_4) | instskip(SKIP_2) | instid1(VALU_DEP_1)
	v_add_f64_e32 v[70:71], v[52:53], v[54:55]
	v_add_f64_e64 v[52:53], v[36:37], -v[40:41]
	v_add_f64_e64 v[54:55], v[50:51], -v[42:43]
	v_add_f64_e32 v[127:128], v[52:53], v[54:55]
	ds_load_b128 v[52:55], v8 offset:8000
	s_wait_dscnt 0x0
	v_fma_f64 v[125:126], v[121:122], -0.5, v[52:53]
	v_add_f64_e32 v[121:122], v[40:41], v[42:43]
	s_delay_alu instid0(VALU_DEP_1) | instskip(NEXT) | instid1(VALU_DEP_3)
	v_fma_f64 v[130:131], v[121:122], -0.5, v[54:55]
	v_fma_f64 v[121:122], v[132:133], s[18:19], v[125:126]
	v_fma_f64 v[125:126], v[132:133], s[20:21], v[125:126]
	s_delay_alu instid0(VALU_DEP_3) | instskip(NEXT) | instid1(VALU_DEP_3)
	v_fma_f64 v[123:124], v[136:137], s[20:21], v[130:131]
	v_fma_f64 v[121:122], v[134:135], s[12:13], v[121:122]
	;; [unrolled: 1-line block ×3, first 2 shown]
	s_delay_alu instid0(VALU_DEP_4) | instskip(NEXT) | instid1(VALU_DEP_4)
	v_fma_f64 v[125:126], v[134:135], s[14:15], v[125:126]
	v_fma_f64 v[123:124], v[138:139], s[14:15], v[123:124]
	s_delay_alu instid0(VALU_DEP_4) | instskip(NEXT) | instid1(VALU_DEP_4)
	v_fma_f64 v[121:122], v[70:71], s[16:17], v[121:122]
	v_fma_f64 v[130:131], v[138:139], s[12:13], v[130:131]
	s_delay_alu instid0(VALU_DEP_4) | instskip(SKIP_2) | instid1(VALU_DEP_4)
	v_fma_f64 v[125:126], v[70:71], s[16:17], v[125:126]
	v_add_f64_e32 v[70:71], v[38:39], v[48:49]
	v_fma_f64 v[123:124], v[127:128], s[16:17], v[123:124]
	v_fma_f64 v[127:128], v[127:128], s[16:17], v[130:131]
	v_add_f64_e32 v[130:131], v[36:37], v[50:51]
	s_delay_alu instid0(VALU_DEP_4) | instskip(SKIP_1) | instid1(VALU_DEP_3)
	v_fma_f64 v[70:71], v[70:71], -0.5, v[52:53]
	v_add_f64_e32 v[52:53], v[52:53], v[38:39]
	v_fma_f64 v[130:131], v[130:131], -0.5, v[54:55]
	v_add_f64_e32 v[54:55], v[54:55], v[36:37]
	s_delay_alu instid0(VALU_DEP_3) | instskip(NEXT) | instid1(VALU_DEP_3)
	v_add_f64_e32 v[38:39], v[52:53], v[46:47]
	v_fma_f64 v[52:53], v[138:139], s[20:21], v[130:131]
	s_delay_alu instid0(VALU_DEP_3) | instskip(SKIP_1) | instid1(VALU_DEP_4)
	v_add_f64_e32 v[46:47], v[54:55], v[40:41]
	v_add_f64_e64 v[40:41], v[40:41], -v[36:37]
	v_add_f64_e32 v[36:37], v[38:39], v[44:45]
	v_add_f64_e64 v[44:45], v[44:45], -v[48:49]
	s_delay_alu instid0(VALU_DEP_4) | instskip(SKIP_1) | instid1(VALU_DEP_4)
	v_add_f64_e32 v[38:39], v[46:47], v[42:43]
	v_add_f64_e64 v[42:43], v[42:43], -v[50:51]
	v_add_f64_e32 v[36:37], v[36:37], v[48:49]
	v_fma_f64 v[46:47], v[134:135], s[20:21], v[70:71]
	v_fma_f64 v[48:49], v[134:135], s[18:19], v[70:71]
	v_add_f64_e32 v[44:45], v[140:141], v[44:45]
	v_add_f64_e32 v[38:39], v[38:39], v[50:51]
	;; [unrolled: 1-line block ×3, first 2 shown]
	v_fma_f64 v[50:51], v[138:139], s[18:19], v[130:131]
	v_fma_f64 v[40:41], v[132:133], s[12:13], v[46:47]
	;; [unrolled: 1-line block ×4, first 2 shown]
	s_delay_alu instid0(VALU_DEP_4) | instskip(NEXT) | instid1(VALU_DEP_4)
	v_fma_f64 v[42:43], v[136:137], s[14:15], v[50:51]
	v_fma_f64 v[40:41], v[44:45], s[16:17], v[40:41]
	s_delay_alu instid0(VALU_DEP_4) | instskip(NEXT) | instid1(VALU_DEP_4)
	v_fma_f64 v[44:45], v[44:45], s[16:17], v[46:47]
	v_fma_f64 v[46:47], v[54:55], s[16:17], v[48:49]
	v_and_b32_e32 v48, 0xffff, v65
	s_delay_alu instid0(VALU_DEP_1) | instskip(NEXT) | instid1(VALU_DEP_1)
	v_mul_u32_u24_e32 v48, 25, v48
	v_add_lshl_u32 v48, v48, v66, 4
	scratch_store_b32 off, v48, off offset:1060 ; 4-byte Folded Spill
	global_wb scope:SCOPE_SE
	s_wait_storecnt 0x0
	s_barrier_signal -1
	s_barrier_wait -1
	global_inv scope:SCOPE_SE
	ds_store_b128 v48, v[75:78]
	ds_store_b128 v48, v[20:23] offset:80
	ds_store_b128 v48, v[79:82] offset:160
	;; [unrolled: 1-line block ×4, first 2 shown]
	v_and_b32_e32 v16, 0xffff, v67
	s_delay_alu instid0(VALU_DEP_1) | instskip(NEXT) | instid1(VALU_DEP_1)
	v_mul_u32_u24_e32 v16, 25, v16
	v_add_lshl_u32 v16, v16, v72, 4
	v_fma_f64 v[42:43], v[54:55], s[16:17], v[42:43]
	scratch_store_b32 off, v16, off offset:988 ; 4-byte Folded Spill
	ds_store_b128 v16, v[97:100]
	ds_store_b128 v16, v[89:92] offset:80
	ds_store_b128 v16, v[101:104] offset:160
	;; [unrolled: 1-line block ×4, first 2 shown]
	v_mad_u16 v16, v73, 25, v74
	s_delay_alu instid0(VALU_DEP_1) | instskip(NEXT) | instid1(VALU_DEP_1)
	v_and_b32_e32 v16, 0xffff, v16
	v_lshlrev_b32_e32 v16, 4, v16
	ds_store_b128 v16, v[113:116]
	ds_store_b128 v16, v[109:112] offset:80
	ds_store_b128 v16, v[117:120] offset:160
	scratch_store_b32 off, v16, off offset:1492 ; 4-byte Folded Spill
	ds_store_b128 v16, v[4:7] offset:240
	ds_store_b128 v16, v[0:3] offset:320
	v_mad_u16 v0, v61, 25, v62
	s_delay_alu instid0(VALU_DEP_1) | instskip(NEXT) | instid1(VALU_DEP_1)
	v_and_b32_e32 v0, 0xffff, v0
	v_lshlrev_b32_e32 v0, 4, v0
	scratch_store_b32 off, v0, off offset:1400 ; 4-byte Folded Spill
	ds_store_b128 v0, v[24:27]
	ds_store_b128 v0, v[56:59] offset:80
	ds_store_b128 v0, v[28:31] offset:160
	;; [unrolled: 1-line block ×4, first 2 shown]
	v_mad_u16 v0, v63, 25, v64
	s_delay_alu instid0(VALU_DEP_1) | instskip(NEXT) | instid1(VALU_DEP_1)
	v_and_b32_e32 v0, 0xffff, v0
	v_lshlrev_b32_e32 v0, 4, v0
	scratch_store_b32 off, v0, off offset:1132 ; 4-byte Folded Spill
	ds_store_b128 v0, v[36:39]
	ds_store_b128 v0, v[121:124] offset:80
	ds_store_b128 v0, v[40:43] offset:160
	;; [unrolled: 1-line block ×4, first 2 shown]
	v_mul_lo_u16 v0, v11, 41
	global_wb scope:SCOPE_SE
	s_wait_storecnt_dscnt 0x0
	s_barrier_signal -1
	s_barrier_wait -1
	global_inv scope:SCOPE_SE
	v_lshrrev_b16 v42, 10, v0
	s_delay_alu instid0(VALU_DEP_1) | instskip(NEXT) | instid1(VALU_DEP_1)
	v_mul_lo_u16 v0, v42, 25
	v_sub_nc_u16 v0, v10, v0
	s_delay_alu instid0(VALU_DEP_1)
	v_and_b32_e32 v43, 0xff, v0
	ds_load_b128 v[0:3], v8 offset:10000
	v_lshlrev_b32_e32 v6, 6, v43
	global_load_b128 v[10:13], v6, s[10:11] offset:320
	s_wait_loadcnt_dscnt 0x0
	v_mul_f64_e32 v[4:5], v[2:3], v[12:13]
	scratch_store_b128 off, v[10:13], off offset:852 ; 16-byte Folded Spill
	v_fma_f64 v[56:57], v[0:1], v[10:11], -v[4:5]
	v_mul_f64_e32 v[0:1], v[0:1], v[12:13]
	s_delay_alu instid0(VALU_DEP_1)
	v_fma_f64 v[58:59], v[2:3], v[10:11], v[0:1]
	global_load_b128 v[10:13], v6, s[10:11] offset:336
	ds_load_b128 v[0:3], v8 offset:20000
	s_wait_loadcnt_dscnt 0x0
	v_mul_f64_e32 v[4:5], v[2:3], v[12:13]
	scratch_store_b128 off, v[10:13], off offset:868 ; 16-byte Folded Spill
	v_fma_f64 v[61:62], v[0:1], v[10:11], -v[4:5]
	v_mul_f64_e32 v[0:1], v[0:1], v[12:13]
	s_delay_alu instid0(VALU_DEP_1)
	v_fma_f64 v[63:64], v[2:3], v[10:11], v[0:1]
	global_load_b128 v[10:13], v6, s[10:11] offset:352
	ds_load_b128 v[0:3], v8 offset:30000
	s_wait_loadcnt_dscnt 0x0
	v_mul_f64_e32 v[4:5], v[2:3], v[12:13]
	scratch_store_b128 off, v[10:13], off offset:884 ; 16-byte Folded Spill
	v_fma_f64 v[65:66], v[0:1], v[10:11], -v[4:5]
	v_mul_f64_e32 v[0:1], v[0:1], v[12:13]
	s_delay_alu instid0(VALU_DEP_2) | instskip(NEXT) | instid1(VALU_DEP_2)
	v_add_f64_e64 v[121:122], v[61:62], -v[65:66]
	v_fma_f64 v[70:71], v[2:3], v[10:11], v[0:1]
	global_load_b128 v[10:13], v6, s[10:11] offset:368
	ds_load_b128 v[0:3], v8 offset:40000
	v_add_f64_e64 v[101:102], v[63:64], -v[70:71]
	s_wait_loadcnt_dscnt 0x0
	v_mul_f64_e32 v[4:5], v[2:3], v[12:13]
	scratch_store_b128 off, v[10:13], off offset:900 ; 16-byte Folded Spill
	v_fma_f64 v[72:73], v[0:1], v[10:11], -v[4:5]
	v_mul_f64_e32 v[0:1], v[0:1], v[12:13]
	s_delay_alu instid0(VALU_DEP_2) | instskip(NEXT) | instid1(VALU_DEP_2)
	v_add_f64_e64 v[103:104], v[56:57], -v[72:73]
	v_fma_f64 v[74:75], v[2:3], v[10:11], v[0:1]
	v_mul_lo_u16 v0, v60, 41
	s_delay_alu instid0(VALU_DEP_1) | instskip(NEXT) | instid1(VALU_DEP_1)
	v_lshrrev_b16 v44, 10, v0
	v_mul_lo_u16 v0, v44, 25
	s_delay_alu instid0(VALU_DEP_1) | instskip(NEXT) | instid1(VALU_DEP_1)
	v_sub_nc_u16 v0, v164, v0
	v_and_b32_e32 v45, 0xff, v0
	ds_load_b128 v[0:3], v8 offset:12000
	v_lshlrev_b32_e32 v6, 6, v45
	global_load_b128 v[10:13], v6, s[10:11] offset:320
	v_add_f64_e64 v[99:100], v[58:59], -v[74:75]
	s_wait_loadcnt_dscnt 0x0
	v_mul_f64_e32 v[4:5], v[2:3], v[12:13]
	scratch_store_b128 off, v[10:13], off offset:920 ; 16-byte Folded Spill
	v_fma_f64 v[80:81], v[0:1], v[10:11], -v[4:5]
	v_mul_f64_e32 v[0:1], v[0:1], v[12:13]
	s_delay_alu instid0(VALU_DEP_1)
	v_fma_f64 v[82:83], v[2:3], v[10:11], v[0:1]
	global_load_b128 v[10:13], v6, s[10:11] offset:336
	ds_load_b128 v[0:3], v8 offset:22000
	s_wait_loadcnt_dscnt 0x0
	v_mul_f64_e32 v[4:5], v[2:3], v[12:13]
	scratch_store_b128 off, v[10:13], off offset:936 ; 16-byte Folded Spill
	v_fma_f64 v[84:85], v[0:1], v[10:11], -v[4:5]
	v_mul_f64_e32 v[0:1], v[0:1], v[12:13]
	s_delay_alu instid0(VALU_DEP_1)
	v_fma_f64 v[89:90], v[2:3], v[10:11], v[0:1]
	global_load_b128 v[10:13], v6, s[10:11] offset:352
	ds_load_b128 v[0:3], v8 offset:32000
	s_wait_loadcnt_dscnt 0x0
	v_mul_f64_e32 v[4:5], v[2:3], v[12:13]
	scratch_store_b128 off, v[10:13], off offset:952 ; 16-byte Folded Spill
	v_fma_f64 v[91:92], v[0:1], v[10:11], -v[4:5]
	v_mul_f64_e32 v[0:1], v[0:1], v[12:13]
	s_delay_alu instid0(VALU_DEP_2) | instskip(NEXT) | instid1(VALU_DEP_2)
	v_add_f64_e64 v[123:124], v[84:85], -v[91:92]
	v_fma_f64 v[93:94], v[2:3], v[10:11], v[0:1]
	global_load_b128 v[10:13], v6, s[10:11] offset:368
	ds_load_b128 v[0:3], v8 offset:42000
	s_wait_loadcnt_dscnt 0x0
	v_mul_f64_e32 v[4:5], v[2:3], v[12:13]
	scratch_store_b128 off, v[10:13], off offset:968 ; 16-byte Folded Spill
	v_fma_f64 v[95:96], v[0:1], v[10:11], -v[4:5]
	v_mul_f64_e32 v[0:1], v[0:1], v[12:13]
	s_delay_alu instid0(VALU_DEP_1) | instskip(SKIP_1) | instid1(VALU_DEP_1)
	v_fma_f64 v[97:98], v[2:3], v[10:11], v[0:1]
	v_mul_u32_u24_e32 v0, 0x47af, v69
	v_lshrrev_b32_e32 v0, 16, v0
	s_delay_alu instid0(VALU_DEP_1) | instskip(NEXT) | instid1(VALU_DEP_1)
	v_sub_nc_u16 v1, v87, v0
	v_lshrrev_b16 v1, 1, v1
	s_delay_alu instid0(VALU_DEP_1) | instskip(NEXT) | instid1(VALU_DEP_1)
	v_add_nc_u16 v0, v1, v0
	v_lshrrev_b16 v46, 4, v0
	s_delay_alu instid0(VALU_DEP_1) | instskip(NEXT) | instid1(VALU_DEP_1)
	v_mul_lo_u16 v0, v46, 25
	v_sub_nc_u16 v47, v87, v0
	s_delay_alu instid0(VALU_DEP_1) | instskip(NEXT) | instid1(VALU_DEP_1)
	v_lshlrev_b16 v0, 6, v47
	v_and_b32_e32 v0, 0xffff, v0
	s_delay_alu instid0(VALU_DEP_1) | instskip(NEXT) | instid1(VALU_DEP_1)
	v_add_co_u32 v4, s22, s10, v0
	v_add_co_ci_u32_e64 v5, null, s11, 0, s22
	ds_load_b128 v[0:3], v8 offset:14000
	global_load_b128 v[10:13], v[4:5], off offset:320
	s_wait_loadcnt_dscnt 0x0
	v_mul_f64_e32 v[6:7], v[2:3], v[12:13]
	scratch_store_b128 off, v[10:13], off offset:992 ; 16-byte Folded Spill
	v_fma_f64 v[105:106], v[0:1], v[10:11], -v[6:7]
	v_mul_f64_e32 v[0:1], v[0:1], v[12:13]
	s_delay_alu instid0(VALU_DEP_1)
	v_fma_f64 v[107:108], v[2:3], v[10:11], v[0:1]
	global_load_b128 v[10:13], v[4:5], off offset:336
	ds_load_b128 v[0:3], v8 offset:24000
	s_wait_loadcnt_dscnt 0x0
	v_mul_f64_e32 v[6:7], v[2:3], v[12:13]
	scratch_store_b128 off, v[10:13], off offset:1008 ; 16-byte Folded Spill
	v_fma_f64 v[109:110], v[0:1], v[10:11], -v[6:7]
	v_mul_f64_e32 v[0:1], v[0:1], v[12:13]
	s_delay_alu instid0(VALU_DEP_1)
	v_fma_f64 v[111:112], v[2:3], v[10:11], v[0:1]
	global_load_b128 v[10:13], v[4:5], off offset:352
	ds_load_b128 v[0:3], v8 offset:34000
	s_wait_loadcnt_dscnt 0x0
	v_mul_f64_e32 v[6:7], v[2:3], v[12:13]
	scratch_store_b128 off, v[10:13], off offset:1024 ; 16-byte Folded Spill
	v_fma_f64 v[113:114], v[0:1], v[10:11], -v[6:7]
	v_mul_f64_e32 v[0:1], v[0:1], v[12:13]
	s_delay_alu instid0(VALU_DEP_2) | instskip(NEXT) | instid1(VALU_DEP_2)
	v_add_f64_e64 v[127:128], v[109:110], -v[113:114]
	v_fma_f64 v[115:116], v[2:3], v[10:11], v[0:1]
	global_load_b128 v[10:13], v[4:5], off offset:368
	ds_load_b128 v[0:3], v8 offset:44000
	s_wait_loadcnt_dscnt 0x0
	v_mul_f64_e32 v[4:5], v[2:3], v[12:13]
	scratch_store_b128 off, v[10:13], off offset:1040 ; 16-byte Folded Spill
	v_fma_f64 v[117:118], v[0:1], v[10:11], -v[4:5]
	v_mul_f64_e32 v[0:1], v[0:1], v[12:13]
	s_delay_alu instid0(VALU_DEP_2) | instskip(NEXT) | instid1(VALU_DEP_2)
	v_add_f64_e64 v[125:126], v[105:106], -v[117:118]
	v_fma_f64 v[119:120], v[2:3], v[10:11], v[0:1]
	v_mul_u32_u24_e32 v0, 0x47af, v68
	s_delay_alu instid0(VALU_DEP_1) | instskip(NEXT) | instid1(VALU_DEP_1)
	v_lshrrev_b32_e32 v0, 16, v0
	v_sub_nc_u16 v1, v9, v0
	s_delay_alu instid0(VALU_DEP_1) | instskip(NEXT) | instid1(VALU_DEP_1)
	v_lshrrev_b16 v1, 1, v1
	v_add_nc_u16 v0, v1, v0
	s_delay_alu instid0(VALU_DEP_1) | instskip(NEXT) | instid1(VALU_DEP_1)
	v_lshrrev_b16 v48, 4, v0
	v_mul_lo_u16 v0, v48, 25
	s_delay_alu instid0(VALU_DEP_1) | instskip(NEXT) | instid1(VALU_DEP_1)
	v_sub_nc_u16 v49, v9, v0
	v_lshlrev_b16 v0, 6, v49
	s_delay_alu instid0(VALU_DEP_1) | instskip(NEXT) | instid1(VALU_DEP_1)
	v_and_b32_e32 v0, 0xffff, v0
	v_add_co_u32 v4, s22, s10, v0
	s_wait_alu 0xf1ff
	v_add_co_ci_u32_e64 v5, null, s11, 0, s22
	ds_load_b128 v[0:3], v8 offset:16000
	global_load_b128 v[10:13], v[4:5], off offset:320
	s_wait_loadcnt_dscnt 0x0
	v_mul_f64_e32 v[6:7], v[2:3], v[12:13]
	scratch_store_b128 off, v[10:13], off offset:1064 ; 16-byte Folded Spill
	v_fma_f64 v[26:27], v[0:1], v[10:11], -v[6:7]
	v_mul_f64_e32 v[0:1], v[0:1], v[12:13]
	s_delay_alu instid0(VALU_DEP_1)
	v_fma_f64 v[24:25], v[2:3], v[10:11], v[0:1]
	global_load_b128 v[10:13], v[4:5], off offset:336
	ds_load_b128 v[0:3], v8 offset:26000
	s_wait_loadcnt_dscnt 0x0
	v_mul_f64_e32 v[6:7], v[2:3], v[12:13]
	scratch_store_b128 off, v[10:13], off offset:1080 ; 16-byte Folded Spill
	v_fma_f64 v[34:35], v[0:1], v[10:11], -v[6:7]
	v_mul_f64_e32 v[0:1], v[0:1], v[12:13]
	s_delay_alu instid0(VALU_DEP_2) | instskip(NEXT) | instid1(VALU_DEP_2)
	v_add_f64_e64 v[134:135], v[34:35], -v[26:27]
	v_fma_f64 v[28:29], v[2:3], v[10:11], v[0:1]
	global_load_b128 v[10:13], v[4:5], off offset:352
	ds_load_b128 v[0:3], v8 offset:36000
	s_wait_loadcnt_dscnt 0x0
	v_mul_f64_e32 v[6:7], v[2:3], v[12:13]
	scratch_store_b128 off, v[10:13], off offset:1096 ; 16-byte Folded Spill
	v_fma_f64 v[32:33], v[0:1], v[10:11], -v[6:7]
	v_mul_f64_e32 v[0:1], v[0:1], v[12:13]
	s_delay_alu instid0(VALU_DEP_2) | instskip(NEXT) | instid1(VALU_DEP_2)
	v_add_f64_e64 v[132:133], v[34:35], -v[32:33]
	v_fma_f64 v[30:31], v[2:3], v[10:11], v[0:1]
	global_load_b128 v[10:13], v[4:5], off offset:368
	ds_load_b128 v[0:3], v8 offset:46000
	s_wait_loadcnt_dscnt 0x0
	v_mul_f64_e32 v[4:5], v[2:3], v[12:13]
	s_delay_alu instid0(VALU_DEP_1) | instskip(SKIP_1) | instid1(VALU_DEP_2)
	v_fma_f64 v[36:37], v[0:1], v[10:11], -v[4:5]
	v_mul_f64_e32 v[0:1], v[0:1], v[12:13]
	v_add_f64_e64 v[130:131], v[26:27], -v[36:37]
	s_delay_alu instid0(VALU_DEP_2) | instskip(SKIP_1) | instid1(VALU_DEP_1)
	v_fma_f64 v[38:39], v[2:3], v[10:11], v[0:1]
	v_mul_u32_u24_e32 v0, 0x47af, v129
	v_lshrrev_b32_e32 v0, 16, v0
	s_delay_alu instid0(VALU_DEP_1) | instskip(NEXT) | instid1(VALU_DEP_1)
	v_sub_nc_u16 v1, v88, v0
	v_lshrrev_b16 v1, 1, v1
	s_delay_alu instid0(VALU_DEP_1) | instskip(NEXT) | instid1(VALU_DEP_1)
	v_add_nc_u16 v0, v1, v0
	v_lshrrev_b16 v50, 4, v0
	s_delay_alu instid0(VALU_DEP_1) | instskip(NEXT) | instid1(VALU_DEP_1)
	v_mul_lo_u16 v0, v50, 25
	v_sub_nc_u16 v51, v88, v0
	s_delay_alu instid0(VALU_DEP_1) | instskip(NEXT) | instid1(VALU_DEP_1)
	v_lshlrev_b16 v0, 6, v51
	v_and_b32_e32 v0, 0xffff, v0
	s_delay_alu instid0(VALU_DEP_1)
	v_add_co_u32 v4, s22, s10, v0
	s_wait_alu 0xf1ff
	v_add_co_ci_u32_e64 v5, null, s11, 0, s22
	ds_load_b128 v[0:3], v8 offset:18000
	s_clause 0x1
	global_load_b128 v[20:23], v[4:5], off offset:352
	global_load_b128 v[52:55], v[4:5], off offset:368
	scratch_store_b128 off, v[10:13], off offset:1112 ; 16-byte Folded Spill
	global_load_b128 v[12:15], v[4:5], off offset:320
	s_wait_loadcnt 0x2
	scratch_store_b128 off, v[20:23], off offset:1216 ; 16-byte Folded Spill
	s_wait_loadcnt 0x1
	scratch_store_b128 off, v[52:55], off offset:1232 ; 16-byte Folded Spill
	s_wait_loadcnt_dscnt 0x0
	v_mul_f64_e32 v[6:7], v[2:3], v[14:15]
	scratch_store_b128 off, v[12:15], off offset:1184 ; 16-byte Folded Spill
	v_fma_f64 v[10:11], v[0:1], v[12:13], -v[6:7]
	v_mul_f64_e32 v[0:1], v[0:1], v[14:15]
	s_delay_alu instid0(VALU_DEP_1)
	v_fma_f64 v[40:41], v[2:3], v[12:13], v[0:1]
	global_load_b128 v[12:15], v[4:5], off offset:336
	ds_load_b128 v[0:3], v8 offset:28000
	s_wait_loadcnt_dscnt 0x0
	v_mul_f64_e32 v[6:7], v[2:3], v[14:15]
	scratch_store_b128 off, v[12:15], off offset:1200 ; 16-byte Folded Spill
	v_fma_f64 v[18:19], v[0:1], v[12:13], -v[6:7]
	v_mul_f64_e32 v[0:1], v[0:1], v[14:15]
	s_delay_alu instid0(VALU_DEP_2) | instskip(NEXT) | instid1(VALU_DEP_2)
	v_add_f64_e64 v[138:139], v[18:19], -v[10:11]
	v_fma_f64 v[12:13], v[2:3], v[12:13], v[0:1]
	ds_load_b128 v[0:3], v8 offset:38000
	s_wait_dscnt 0x0
	v_mul_f64_e32 v[6:7], v[2:3], v[22:23]
	s_delay_alu instid0(VALU_DEP_1) | instskip(SKIP_1) | instid1(VALU_DEP_2)
	v_fma_f64 v[16:17], v[0:1], v[20:21], -v[6:7]
	v_mul_f64_e32 v[0:1], v[0:1], v[22:23]
	v_add_f64_e64 v[136:137], v[18:19], -v[16:17]
	s_delay_alu instid0(VALU_DEP_2) | instskip(SKIP_3) | instid1(VALU_DEP_1)
	v_fma_f64 v[14:15], v[2:3], v[20:21], v[0:1]
	ds_load_b128 v[0:3], v8 offset:48000
	s_wait_dscnt 0x0
	v_mul_f64_e32 v[4:5], v[2:3], v[54:55]
	v_fma_f64 v[20:21], v[0:1], v[52:53], -v[4:5]
	v_mul_f64_e32 v[0:1], v[0:1], v[54:55]
	v_add_f64_e64 v[4:5], v[74:75], -v[70:71]
	s_delay_alu instid0(VALU_DEP_2)
	v_fma_f64 v[22:23], v[2:3], v[52:53], v[0:1]
	v_add_f64_e64 v[0:1], v[56:57], -v[61:62]
	v_add_f64_e64 v[2:3], v[72:73], -v[65:66]
	ds_load_b128 v[52:55], v8
	v_add_f64_e32 v[0:1], v[0:1], v[2:3]
	v_add_f64_e64 v[2:3], v[58:59], -v[63:64]
	s_delay_alu instid0(VALU_DEP_1) | instskip(SKIP_2) | instid1(VALU_DEP_1)
	v_add_f64_e32 v[2:3], v[2:3], v[4:5]
	v_add_f64_e32 v[4:5], v[61:62], v[65:66]
	s_wait_dscnt 0x0
	v_fma_f64 v[76:77], v[4:5], -0.5, v[52:53]
	v_add_f64_e32 v[4:5], v[63:64], v[70:71]
	s_delay_alu instid0(VALU_DEP_1) | instskip(NEXT) | instid1(VALU_DEP_3)
	v_fma_f64 v[78:79], v[4:5], -0.5, v[54:55]
	v_fma_f64 v[4:5], v[99:100], s[18:19], v[76:77]
	v_fma_f64 v[76:77], v[99:100], s[20:21], v[76:77]
	s_delay_alu instid0(VALU_DEP_3) | instskip(NEXT) | instid1(VALU_DEP_3)
	v_fma_f64 v[6:7], v[103:104], s[20:21], v[78:79]
	v_fma_f64 v[4:5], v[101:102], s[12:13], v[4:5]
	;; [unrolled: 1-line block ×3, first 2 shown]
	s_delay_alu instid0(VALU_DEP_4) | instskip(NEXT) | instid1(VALU_DEP_4)
	v_fma_f64 v[76:77], v[101:102], s[14:15], v[76:77]
	v_fma_f64 v[6:7], v[121:122], s[14:15], v[6:7]
	s_delay_alu instid0(VALU_DEP_4) | instskip(NEXT) | instid1(VALU_DEP_4)
	v_fma_f64 v[4:5], v[0:1], s[16:17], v[4:5]
	v_fma_f64 v[78:79], v[121:122], s[12:13], v[78:79]
	s_delay_alu instid0(VALU_DEP_4) | instskip(SKIP_2) | instid1(VALU_DEP_4)
	v_fma_f64 v[0:1], v[0:1], s[16:17], v[76:77]
	v_add_f64_e32 v[76:77], v[56:57], v[72:73]
	v_fma_f64 v[6:7], v[2:3], s[16:17], v[6:7]
	v_fma_f64 v[2:3], v[2:3], s[16:17], v[78:79]
	v_add_f64_e32 v[78:79], v[58:59], v[74:75]
	s_delay_alu instid0(VALU_DEP_4) | instskip(SKIP_2) | instid1(VALU_DEP_4)
	v_fma_f64 v[76:77], v[76:77], -0.5, v[52:53]
	v_add_f64_e32 v[52:53], v[52:53], v[56:57]
	v_add_f64_e64 v[56:57], v[61:62], -v[56:57]
	v_fma_f64 v[78:79], v[78:79], -0.5, v[54:55]
	v_add_f64_e32 v[54:55], v[54:55], v[58:59]
	s_delay_alu instid0(VALU_DEP_4) | instskip(SKIP_2) | instid1(VALU_DEP_4)
	v_add_f64_e32 v[52:53], v[52:53], v[61:62]
	v_add_f64_e64 v[58:59], v[63:64], -v[58:59]
	v_add_f64_e64 v[60:61], v[65:66], -v[72:73]
	v_add_f64_e32 v[54:55], v[54:55], v[63:64]
	s_delay_alu instid0(VALU_DEP_4)
	v_add_f64_e32 v[52:53], v[52:53], v[65:66]
	v_add_f64_e64 v[62:63], v[70:71], -v[74:75]
	v_fma_f64 v[64:65], v[101:102], s[20:21], v[76:77]
	v_fma_f64 v[66:67], v[101:102], s[18:19], v[76:77]
	v_add_f64_e32 v[60:61], v[56:57], v[60:61]
	v_add_f64_e64 v[101:102], v[82:83], -v[97:98]
	v_add_f64_e32 v[54:55], v[54:55], v[70:71]
	v_add_f64_e32 v[52:53], v[52:53], v[72:73]
	v_fma_f64 v[70:71], v[121:122], s[18:19], v[78:79]
	v_fma_f64 v[72:73], v[121:122], s[20:21], v[78:79]
	v_add_f64_e32 v[62:63], v[58:59], v[62:63]
	v_fma_f64 v[56:57], v[99:100], s[12:13], v[64:65]
	v_fma_f64 v[64:65], v[99:100], s[14:15], v[66:67]
	v_add_f64_e64 v[121:122], v[80:81], -v[95:96]
	v_add_f64_e32 v[54:55], v[54:55], v[74:75]
	v_fma_f64 v[58:59], v[103:104], s[14:15], v[70:71]
	v_fma_f64 v[66:67], v[103:104], s[12:13], v[72:73]
	v_add_f64_e32 v[72:73], v[84:85], v[91:92]
	v_fma_f64 v[56:57], v[60:61], s[16:17], v[56:57]
	v_fma_f64 v[60:61], v[60:61], s[16:17], v[64:65]
	v_add_f64_e64 v[64:65], v[80:81], -v[84:85]
	v_add_f64_e64 v[103:104], v[89:90], -v[93:94]
	v_fma_f64 v[58:59], v[62:63], s[16:17], v[58:59]
	v_fma_f64 v[62:63], v[62:63], s[16:17], v[66:67]
	v_add_f64_e64 v[66:67], v[95:96], -v[91:92]
	s_delay_alu instid0(VALU_DEP_1) | instskip(SKIP_2) | instid1(VALU_DEP_1)
	v_add_f64_e32 v[70:71], v[64:65], v[66:67]
	v_add_f64_e64 v[64:65], v[82:83], -v[89:90]
	v_add_f64_e64 v[66:67], v[97:98], -v[93:94]
	v_add_f64_e32 v[78:79], v[64:65], v[66:67]
	ds_load_b128 v[64:67], v8 offset:2000
	s_wait_dscnt 0x0
	v_fma_f64 v[76:77], v[72:73], -0.5, v[64:65]
	v_add_f64_e32 v[72:73], v[89:90], v[93:94]
	s_delay_alu instid0(VALU_DEP_1) | instskip(NEXT) | instid1(VALU_DEP_3)
	v_fma_f64 v[99:100], v[72:73], -0.5, v[66:67]
	v_fma_f64 v[72:73], v[101:102], s[18:19], v[76:77]
	v_fma_f64 v[76:77], v[101:102], s[20:21], v[76:77]
	s_delay_alu instid0(VALU_DEP_3) | instskip(NEXT) | instid1(VALU_DEP_3)
	v_fma_f64 v[74:75], v[121:122], s[20:21], v[99:100]
	v_fma_f64 v[72:73], v[103:104], s[12:13], v[72:73]
	;; [unrolled: 1-line block ×3, first 2 shown]
	s_delay_alu instid0(VALU_DEP_4) | instskip(NEXT) | instid1(VALU_DEP_4)
	v_fma_f64 v[76:77], v[103:104], s[14:15], v[76:77]
	v_fma_f64 v[74:75], v[123:124], s[14:15], v[74:75]
	s_delay_alu instid0(VALU_DEP_4) | instskip(NEXT) | instid1(VALU_DEP_4)
	v_fma_f64 v[72:73], v[70:71], s[16:17], v[72:73]
	v_fma_f64 v[99:100], v[123:124], s[12:13], v[99:100]
	s_delay_alu instid0(VALU_DEP_4) | instskip(SKIP_2) | instid1(VALU_DEP_4)
	v_fma_f64 v[76:77], v[70:71], s[16:17], v[76:77]
	v_add_f64_e32 v[70:71], v[80:81], v[95:96]
	v_fma_f64 v[74:75], v[78:79], s[16:17], v[74:75]
	v_fma_f64 v[78:79], v[78:79], s[16:17], v[99:100]
	v_add_f64_e32 v[99:100], v[82:83], v[97:98]
	s_delay_alu instid0(VALU_DEP_4) | instskip(SKIP_2) | instid1(VALU_DEP_4)
	v_fma_f64 v[70:71], v[70:71], -0.5, v[64:65]
	v_add_f64_e32 v[64:65], v[64:65], v[80:81]
	v_add_f64_e64 v[80:81], v[84:85], -v[80:81]
	v_fma_f64 v[99:100], v[99:100], -0.5, v[66:67]
	v_add_f64_e32 v[66:67], v[66:67], v[82:83]
	s_delay_alu instid0(VALU_DEP_4) | instskip(SKIP_2) | instid1(VALU_DEP_4)
	v_add_f64_e32 v[64:65], v[64:65], v[84:85]
	v_add_f64_e64 v[84:85], v[91:92], -v[95:96]
	v_add_f64_e64 v[82:83], v[89:90], -v[82:83]
	v_add_f64_e32 v[66:67], v[66:67], v[89:90]
	s_delay_alu instid0(VALU_DEP_4)
	v_add_f64_e32 v[64:65], v[64:65], v[91:92]
	v_fma_f64 v[91:92], v[103:104], s[20:21], v[70:71]
	v_fma_f64 v[70:71], v[103:104], s[18:19], v[70:71]
	v_add_f64_e64 v[89:90], v[93:94], -v[97:98]
	v_add_f64_e32 v[84:85], v[80:81], v[84:85]
	v_add_f64_e32 v[66:67], v[66:67], v[93:94]
	;; [unrolled: 1-line block ×3, first 2 shown]
	v_fma_f64 v[80:81], v[101:102], s[12:13], v[91:92]
	v_fma_f64 v[70:71], v[101:102], s[14:15], v[70:71]
	;; [unrolled: 1-line block ×4, first 2 shown]
	v_add_f64_e64 v[123:124], v[111:112], -v[115:116]
	v_add_f64_e32 v[66:67], v[66:67], v[97:98]
	v_add_f64_e32 v[97:98], v[82:83], v[89:90]
	v_fma_f64 v[80:81], v[84:85], s[16:17], v[80:81]
	v_fma_f64 v[89:90], v[84:85], s[16:17], v[70:71]
	v_add_f64_e64 v[70:71], v[105:106], -v[109:110]
	v_add_f64_e64 v[84:85], v[117:118], -v[113:114]
	v_fma_f64 v[82:83], v[121:122], s[14:15], v[93:94]
	v_fma_f64 v[91:92], v[121:122], s[12:13], v[95:96]
	v_add_f64_e64 v[93:94], v[119:120], -v[115:116]
	v_add_f64_e64 v[121:122], v[107:108], -v[119:120]
	v_add_f64_e32 v[70:71], v[70:71], v[84:85]
	v_add_f64_e64 v[84:85], v[107:108], -v[111:112]
	v_fma_f64 v[82:83], v[97:98], s[16:17], v[82:83]
	v_fma_f64 v[91:92], v[97:98], s[16:17], v[91:92]
	v_add_f64_e32 v[97:98], v[109:110], v[113:114]
	s_delay_alu instid0(VALU_DEP_4) | instskip(SKIP_4) | instid1(VALU_DEP_1)
	v_add_f64_e32 v[84:85], v[84:85], v[93:94]
	ds_load_b128 v[93:96], v8 offset:4000
	s_wait_dscnt 0x0
	v_fma_f64 v[101:102], v[97:98], -0.5, v[93:94]
	v_add_f64_e32 v[97:98], v[111:112], v[115:116]
	v_fma_f64 v[103:104], v[97:98], -0.5, v[95:96]
	s_delay_alu instid0(VALU_DEP_3) | instskip(SKIP_1) | instid1(VALU_DEP_3)
	v_fma_f64 v[97:98], v[121:122], s[18:19], v[101:102]
	v_fma_f64 v[101:102], v[121:122], s[20:21], v[101:102]
	;; [unrolled: 1-line block ×4, first 2 shown]
	s_delay_alu instid0(VALU_DEP_4) | instskip(NEXT) | instid1(VALU_DEP_4)
	v_fma_f64 v[97:98], v[123:124], s[12:13], v[97:98]
	v_fma_f64 v[101:102], v[123:124], s[14:15], v[101:102]
	s_delay_alu instid0(VALU_DEP_4) | instskip(NEXT) | instid1(VALU_DEP_4)
	v_fma_f64 v[99:100], v[127:128], s[14:15], v[99:100]
	v_fma_f64 v[103:104], v[127:128], s[12:13], v[103:104]
	;; [unrolled: 3-line block ×3, first 2 shown]
	v_add_f64_e32 v[70:71], v[105:106], v[117:118]
	v_fma_f64 v[99:100], v[84:85], s[16:17], v[99:100]
	v_fma_f64 v[103:104], v[84:85], s[16:17], v[103:104]
	v_add_f64_e32 v[84:85], v[107:108], v[119:120]
	s_delay_alu instid0(VALU_DEP_4) | instskip(SKIP_2) | instid1(VALU_DEP_4)
	v_fma_f64 v[70:71], v[70:71], -0.5, v[93:94]
	v_add_f64_e32 v[93:94], v[93:94], v[105:106]
	v_add_f64_e64 v[105:106], v[109:110], -v[105:106]
	v_fma_f64 v[84:85], v[84:85], -0.5, v[95:96]
	v_add_f64_e32 v[95:96], v[95:96], v[107:108]
	v_add_f64_e64 v[107:108], v[111:112], -v[107:108]
	v_add_f64_e32 v[93:94], v[93:94], v[109:110]
	v_add_f64_e64 v[109:110], v[113:114], -v[117:118]
	s_delay_alu instid0(VALU_DEP_4) | instskip(SKIP_1) | instid1(VALU_DEP_4)
	v_add_f64_e32 v[95:96], v[95:96], v[111:112]
	v_add_f64_e64 v[111:112], v[115:116], -v[119:120]
	v_add_f64_e32 v[93:94], v[93:94], v[113:114]
	v_fma_f64 v[113:114], v[123:124], s[20:21], v[70:71]
	v_fma_f64 v[70:71], v[123:124], s[18:19], v[70:71]
	v_add_f64_e32 v[109:110], v[105:106], v[109:110]
	v_add_f64_e32 v[95:96], v[95:96], v[115:116]
	v_fma_f64 v[115:116], v[127:128], s[18:19], v[84:85]
	v_fma_f64 v[84:85], v[127:128], s[20:21], v[84:85]
	v_add_f64_e32 v[111:112], v[107:108], v[111:112]
	v_fma_f64 v[105:106], v[121:122], s[12:13], v[113:114]
	v_fma_f64 v[70:71], v[121:122], s[14:15], v[70:71]
	v_add_f64_e64 v[113:114], v[38:39], -v[30:31]
	v_add_f64_e32 v[93:94], v[93:94], v[117:118]
	v_add_f64_e32 v[117:118], v[34:35], v[32:33]
	v_add_f64_e64 v[127:128], v[28:29], -v[30:31]
	v_add_f64_e32 v[95:96], v[95:96], v[119:120]
	v_fma_f64 v[107:108], v[125:126], s[14:15], v[115:116]
	v_fma_f64 v[84:85], v[125:126], s[12:13], v[84:85]
	v_add_f64_e64 v[125:126], v[24:25], -v[38:39]
	v_fma_f64 v[105:106], v[109:110], s[16:17], v[105:106]
	v_fma_f64 v[109:110], v[109:110], s[16:17], v[70:71]
	v_add_f64_e64 v[70:71], v[26:27], -v[34:35]
	;; [unrolled: 3-line block ×3, first 2 shown]
	s_delay_alu instid0(VALU_DEP_1) | instskip(SKIP_1) | instid1(VALU_DEP_1)
	v_add_f64_e32 v[70:71], v[70:71], v[84:85]
	v_add_f64_e64 v[84:85], v[24:25], -v[28:29]
	v_add_f64_e32 v[84:85], v[84:85], v[113:114]
	ds_load_b128 v[113:116], v8 offset:6000
	s_wait_dscnt 0x0
	v_fma_f64 v[121:122], v[117:118], -0.5, v[113:114]
	v_add_f64_e32 v[117:118], v[28:29], v[30:31]
	s_delay_alu instid0(VALU_DEP_1) | instskip(NEXT) | instid1(VALU_DEP_3)
	v_fma_f64 v[123:124], v[117:118], -0.5, v[115:116]
	v_fma_f64 v[117:118], v[125:126], s[18:19], v[121:122]
	v_fma_f64 v[121:122], v[125:126], s[20:21], v[121:122]
	s_delay_alu instid0(VALU_DEP_3) | instskip(NEXT) | instid1(VALU_DEP_3)
	v_fma_f64 v[119:120], v[130:131], s[20:21], v[123:124]
	v_fma_f64 v[117:118], v[127:128], s[12:13], v[117:118]
	;; [unrolled: 1-line block ×3, first 2 shown]
	s_delay_alu instid0(VALU_DEP_4) | instskip(NEXT) | instid1(VALU_DEP_4)
	v_fma_f64 v[121:122], v[127:128], s[14:15], v[121:122]
	v_fma_f64 v[119:120], v[132:133], s[14:15], v[119:120]
	s_delay_alu instid0(VALU_DEP_4) | instskip(NEXT) | instid1(VALU_DEP_4)
	v_fma_f64 v[117:118], v[70:71], s[16:17], v[117:118]
	v_fma_f64 v[123:124], v[132:133], s[12:13], v[123:124]
	s_delay_alu instid0(VALU_DEP_4) | instskip(SKIP_2) | instid1(VALU_DEP_4)
	v_fma_f64 v[121:122], v[70:71], s[16:17], v[121:122]
	v_add_f64_e32 v[70:71], v[26:27], v[36:37]
	v_fma_f64 v[119:120], v[84:85], s[16:17], v[119:120]
	v_fma_f64 v[123:124], v[84:85], s[16:17], v[123:124]
	v_add_f64_e32 v[84:85], v[24:25], v[38:39]
	s_delay_alu instid0(VALU_DEP_4) | instskip(SKIP_1) | instid1(VALU_DEP_3)
	v_fma_f64 v[70:71], v[70:71], -0.5, v[113:114]
	v_add_f64_e32 v[113:114], v[113:114], v[26:27]
	v_fma_f64 v[84:85], v[84:85], -0.5, v[115:116]
	v_add_f64_e32 v[115:116], v[115:116], v[24:25]
	s_delay_alu instid0(VALU_DEP_3) | instskip(SKIP_1) | instid1(VALU_DEP_3)
	v_add_f64_e32 v[26:27], v[113:114], v[34:35]
	v_add_f64_e32 v[113:114], v[18:19], v[16:17]
	;; [unrolled: 1-line block ×3, first 2 shown]
	v_add_f64_e64 v[28:29], v[28:29], -v[24:25]
	s_delay_alu instid0(VALU_DEP_4) | instskip(SKIP_1) | instid1(VALU_DEP_4)
	v_add_f64_e32 v[24:25], v[26:27], v[32:33]
	v_add_f64_e64 v[32:33], v[32:33], -v[36:37]
	v_add_f64_e32 v[26:27], v[34:35], v[30:31]
	v_add_f64_e64 v[30:31], v[30:31], -v[38:39]
	s_delay_alu instid0(VALU_DEP_4)
	v_add_f64_e32 v[24:25], v[24:25], v[36:37]
	v_fma_f64 v[34:35], v[127:128], s[20:21], v[70:71]
	v_fma_f64 v[36:37], v[127:128], s[18:19], v[70:71]
	;; [unrolled: 1-line block ×3, first 2 shown]
	v_add_f64_e32 v[32:33], v[134:135], v[32:33]
	v_add_f64_e64 v[134:135], v[10:11], -v[20:21]
	v_add_f64_e32 v[26:27], v[26:27], v[38:39]
	v_fma_f64 v[38:39], v[132:133], s[18:19], v[84:85]
	v_add_f64_e32 v[84:85], v[28:29], v[30:31]
	v_fma_f64 v[28:29], v[125:126], s[12:13], v[34:35]
	v_fma_f64 v[34:35], v[125:126], s[14:15], v[36:37]
	;; [unrolled: 1-line block ×3, first 2 shown]
	v_add_f64_e64 v[132:133], v[12:13], -v[14:15]
	v_fma_f64 v[30:31], v[130:131], s[14:15], v[38:39]
	v_add_f64_e64 v[38:39], v[20:21], -v[16:17]
	v_fma_f64 v[28:29], v[32:33], s[16:17], v[28:29]
	v_fma_f64 v[32:33], v[32:33], s[16:17], v[34:35]
	;; [unrolled: 1-line block ×3, first 2 shown]
	v_add_f64_e64 v[36:37], v[10:11], -v[18:19]
	v_add_f64_e64 v[130:131], v[40:41], -v[22:23]
	v_fma_f64 v[30:31], v[84:85], s[16:17], v[30:31]
	s_delay_alu instid0(VALU_DEP_3) | instskip(SKIP_2) | instid1(VALU_DEP_1)
	v_add_f64_e32 v[70:71], v[36:37], v[38:39]
	v_add_f64_e64 v[36:37], v[40:41], -v[12:13]
	v_add_f64_e64 v[38:39], v[22:23], -v[14:15]
	v_add_f64_e32 v[84:85], v[36:37], v[38:39]
	ds_load_b128 v[36:39], v8 offset:8000
	s_wait_dscnt 0x0
	v_fma_f64 v[125:126], v[113:114], -0.5, v[36:37]
	v_add_f64_e32 v[113:114], v[12:13], v[14:15]
	s_delay_alu instid0(VALU_DEP_1) | instskip(NEXT) | instid1(VALU_DEP_3)
	v_fma_f64 v[127:128], v[113:114], -0.5, v[38:39]
	v_fma_f64 v[113:114], v[130:131], s[18:19], v[125:126]
	v_fma_f64 v[125:126], v[130:131], s[20:21], v[125:126]
	s_delay_alu instid0(VALU_DEP_3) | instskip(SKIP_1) | instid1(VALU_DEP_4)
	v_fma_f64 v[115:116], v[134:135], s[20:21], v[127:128]
	v_fma_f64 v[127:128], v[134:135], s[18:19], v[127:128]
	;; [unrolled: 1-line block ×3, first 2 shown]
	s_delay_alu instid0(VALU_DEP_4) | instskip(NEXT) | instid1(VALU_DEP_4)
	v_fma_f64 v[125:126], v[132:133], s[14:15], v[125:126]
	v_fma_f64 v[115:116], v[136:137], s[14:15], v[115:116]
	s_delay_alu instid0(VALU_DEP_4) | instskip(NEXT) | instid1(VALU_DEP_4)
	v_fma_f64 v[127:128], v[136:137], s[12:13], v[127:128]
	v_fma_f64 v[113:114], v[70:71], s[16:17], v[113:114]
	s_delay_alu instid0(VALU_DEP_4) | instskip(SKIP_4) | instid1(VALU_DEP_4)
	v_fma_f64 v[125:126], v[70:71], s[16:17], v[125:126]
	v_add_f64_e32 v[70:71], v[10:11], v[20:21]
	v_fma_f64 v[115:116], v[84:85], s[16:17], v[115:116]
	v_fma_f64 v[127:128], v[84:85], s[16:17], v[127:128]
	v_add_f64_e32 v[84:85], v[40:41], v[22:23]
	v_fma_f64 v[70:71], v[70:71], -0.5, v[36:37]
	v_add_f64_e32 v[36:37], v[36:37], v[10:11]
	s_delay_alu instid0(VALU_DEP_3) | instskip(SKIP_1) | instid1(VALU_DEP_3)
	v_fma_f64 v[84:85], v[84:85], -0.5, v[38:39]
	v_add_f64_e32 v[38:39], v[38:39], v[40:41]
	v_add_f64_e32 v[10:11], v[36:37], v[18:19]
	v_add_f64_e64 v[36:37], v[12:13], -v[40:41]
	s_delay_alu instid0(VALU_DEP_3) | instskip(SKIP_1) | instid1(VALU_DEP_4)
	v_add_f64_e32 v[18:19], v[38:39], v[12:13]
	v_fma_f64 v[38:39], v[136:137], s[20:21], v[84:85]
	v_add_f64_e32 v[10:11], v[10:11], v[16:17]
	v_add_f64_e64 v[16:17], v[16:17], -v[20:21]
	s_delay_alu instid0(VALU_DEP_4)
	v_add_f64_e32 v[12:13], v[18:19], v[14:15]
	v_add_f64_e64 v[14:15], v[14:15], -v[22:23]
	v_fma_f64 v[18:19], v[132:133], s[20:21], v[70:71]
	v_add_f64_e32 v[10:11], v[10:11], v[20:21]
	v_fma_f64 v[20:21], v[132:133], s[18:19], v[70:71]
	v_add_f64_e32 v[40:41], v[138:139], v[16:17]
	v_add_f64_e32 v[12:13], v[12:13], v[22:23]
	v_fma_f64 v[22:23], v[136:137], s[18:19], v[84:85]
	v_add_f64_e32 v[36:37], v[36:37], v[14:15]
	v_fma_f64 v[14:15], v[130:131], s[12:13], v[18:19]
	v_fma_f64 v[18:19], v[130:131], s[14:15], v[20:21]
	;; [unrolled: 1-line block ×4, first 2 shown]
	v_and_b32_e32 v22, 0xffff, v42
	v_fma_f64 v[14:15], v[40:41], s[16:17], v[14:15]
	v_fma_f64 v[18:19], v[40:41], s[16:17], v[18:19]
	;; [unrolled: 1-line block ×3, first 2 shown]
	s_delay_alu instid0(VALU_DEP_4) | instskip(NEXT) | instid1(VALU_DEP_1)
	v_mul_u32_u24_e32 v22, 0x7d, v22
	v_add_lshl_u32 v22, v22, v43, 4
	scratch_store_b32 off, v22, off offset:1516 ; 4-byte Folded Spill
	global_wb scope:SCOPE_SE
	s_wait_storecnt 0x0
	s_barrier_signal -1
	s_barrier_wait -1
	global_inv scope:SCOPE_SE
	ds_store_b128 v22, v[52:55]
	ds_store_b128 v22, v[4:7] offset:400
	ds_store_b128 v22, v[56:59] offset:800
	;; [unrolled: 1-line block ×4, first 2 shown]
	v_and_b32_e32 v0, 0xffff, v44
	s_delay_alu instid0(VALU_DEP_1) | instskip(NEXT) | instid1(VALU_DEP_1)
	v_mul_u32_u24_e32 v0, 0x7d, v0
	v_add_lshl_u32 v0, v0, v45, 4
	scratch_store_b32 off, v0, off offset:1496 ; 4-byte Folded Spill
	ds_store_b128 v0, v[64:67]
	ds_store_b128 v0, v[72:75] offset:400
	ds_store_b128 v0, v[80:83] offset:800
	;; [unrolled: 1-line block ×4, first 2 shown]
	v_mad_u16 v0, 0x7d, v46, v47
	v_fma_f64 v[16:17], v[36:37], s[16:17], v[16:17]
	s_delay_alu instid0(VALU_DEP_2) | instskip(NEXT) | instid1(VALU_DEP_1)
	v_and_b32_e32 v0, 0xffff, v0
	v_lshlrev_b32_e32 v0, 4, v0
	scratch_store_b32 off, v0, off offset:1420 ; 4-byte Folded Spill
	ds_store_b128 v0, v[93:96]
	ds_store_b128 v0, v[97:100] offset:400
	ds_store_b128 v0, v[105:108] offset:800
	;; [unrolled: 1-line block ×4, first 2 shown]
	v_mad_u16 v0, 0x7d, v48, v49
	s_delay_alu instid0(VALU_DEP_1) | instskip(NEXT) | instid1(VALU_DEP_1)
	v_and_b32_e32 v0, 0xffff, v0
	v_lshlrev_b32_e32 v0, 4, v0
	scratch_store_b32 off, v0, off offset:1328 ; 4-byte Folded Spill
	ds_store_b128 v0, v[24:27]
	ds_store_b128 v0, v[117:120] offset:400
	ds_store_b128 v0, v[28:31] offset:800
	;; [unrolled: 1-line block ×4, first 2 shown]
	v_mad_u16 v0, 0x7d, v50, v51
	v_lshlrev_b32_e32 v32, 6, v220
	s_delay_alu instid0(VALU_DEP_2) | instskip(NEXT) | instid1(VALU_DEP_1)
	v_and_b32_e32 v0, 0xffff, v0
	v_lshlrev_b32_e32 v0, 4, v0
	scratch_store_b32 off, v0, off offset:1128 ; 4-byte Folded Spill
	ds_store_b128 v0, v[10:13]
	ds_store_b128 v0, v[113:116] offset:400
	ds_store_b128 v0, v[14:17] offset:800
	;; [unrolled: 1-line block ×4, first 2 shown]
	global_wb scope:SCOPE_SE
	s_wait_storecnt_dscnt 0x0
	s_barrier_signal -1
	s_barrier_wait -1
	global_inv scope:SCOPE_SE
	s_clause 0x3
	global_load_b128 v[240:243], v32, s[10:11] offset:1920
	global_load_b128 v[204:207], v32, s[10:11] offset:1936
	;; [unrolled: 1-line block ×4, first 2 shown]
	ds_load_b128 v[0:3], v8 offset:10000
	ds_load_b128 v[44:47], v8
	ds_load_b128 v[216:219], v8 offset:4000
	s_wait_loadcnt_dscnt 0x302
	v_mul_f64_e32 v[4:5], v[2:3], v[242:243]
	s_delay_alu instid0(VALU_DEP_1) | instskip(SKIP_1) | instid1(VALU_DEP_1)
	v_fma_f64 v[4:5], v[0:1], v[240:241], -v[4:5]
	v_mul_f64_e32 v[0:1], v[0:1], v[242:243]
	v_fma_f64 v[6:7], v[2:3], v[240:241], v[0:1]
	ds_load_b128 v[0:3], v8 offset:20000
	s_wait_loadcnt_dscnt 0x200
	v_mul_f64_e32 v[10:11], v[2:3], v[206:207]
	s_delay_alu instid0(VALU_DEP_1) | instskip(SKIP_1) | instid1(VALU_DEP_1)
	v_fma_f64 v[48:49], v[0:1], v[204:205], -v[10:11]
	v_mul_f64_e32 v[0:1], v[0:1], v[206:207]
	v_fma_f64 v[56:57], v[2:3], v[204:205], v[0:1]
	ds_load_b128 v[0:3], v8 offset:30000
	s_wait_loadcnt_dscnt 0x100
	v_mul_f64_e32 v[10:11], v[2:3], v[210:211]
	s_delay_alu instid0(VALU_DEP_1) | instskip(SKIP_1) | instid1(VALU_DEP_2)
	v_fma_f64 v[58:59], v[0:1], v[208:209], -v[10:11]
	v_mul_f64_e32 v[0:1], v[0:1], v[210:211]
	v_add_f64_e64 v[126:127], v[48:49], -v[58:59]
	s_delay_alu instid0(VALU_DEP_2)
	v_fma_f64 v[60:61], v[2:3], v[208:209], v[0:1]
	ds_load_b128 v[0:3], v8 offset:40000
	s_wait_loadcnt_dscnt 0x0
	v_mul_f64_e32 v[10:11], v[2:3], v[230:231]
	v_add_f64_e32 v[38:39], v[56:57], v[60:61]
	v_add_f64_e64 v[122:123], v[56:57], -v[60:61]
	s_delay_alu instid0(VALU_DEP_3) | instskip(SKIP_1) | instid1(VALU_DEP_4)
	v_fma_f64 v[62:63], v[0:1], v[228:229], -v[10:11]
	v_mul_f64_e32 v[0:1], v[0:1], v[230:231]
	v_fma_f64 v[38:39], v[38:39], -0.5, v[46:47]
	s_delay_alu instid0(VALU_DEP_3) | instskip(NEXT) | instid1(VALU_DEP_3)
	v_add_f64_e64 v[124:125], v[4:5], -v[62:63]
	v_fma_f64 v[64:65], v[2:3], v[228:229], v[0:1]
	ds_load_b128 v[0:3], v8 offset:12000
	s_wait_dscnt 0x0
	v_mul_f64_e32 v[10:11], v[2:3], v[242:243]
	v_fma_f64 v[42:43], v[124:125], s[20:21], v[38:39]
	v_add_f64_e64 v[36:37], v[64:65], -v[60:61]
	v_add_f64_e64 v[120:121], v[6:7], -v[64:65]
	v_fma_f64 v[38:39], v[124:125], s[18:19], v[38:39]
	v_fma_f64 v[66:67], v[0:1], v[240:241], -v[10:11]
	v_mul_f64_e32 v[0:1], v[0:1], v[242:243]
	v_fma_f64 v[42:43], v[126:127], s[14:15], v[42:43]
	s_delay_alu instid0(VALU_DEP_4) | instskip(NEXT) | instid1(VALU_DEP_3)
	v_fma_f64 v[38:39], v[126:127], s[12:13], v[38:39]
	v_fma_f64 v[70:71], v[2:3], v[240:241], v[0:1]
	ds_load_b128 v[0:3], v8 offset:22000
	s_wait_dscnt 0x0
	v_mul_f64_e32 v[10:11], v[2:3], v[206:207]
	s_delay_alu instid0(VALU_DEP_1) | instskip(SKIP_1) | instid1(VALU_DEP_1)
	v_fma_f64 v[72:73], v[0:1], v[204:205], -v[10:11]
	v_mul_f64_e32 v[0:1], v[0:1], v[206:207]
	v_fma_f64 v[74:75], v[2:3], v[204:205], v[0:1]
	ds_load_b128 v[0:3], v8 offset:32000
	s_wait_dscnt 0x0
	v_mul_f64_e32 v[10:11], v[2:3], v[210:211]
	s_delay_alu instid0(VALU_DEP_1) | instskip(SKIP_1) | instid1(VALU_DEP_1)
	v_fma_f64 v[76:77], v[0:1], v[208:209], -v[10:11]
	v_mul_f64_e32 v[0:1], v[0:1], v[210:211]
	;; [unrolled: 7-line block ×3, first 2 shown]
	v_fma_f64 v[82:83], v[2:3], v[228:229], v[0:1]
	v_mul_u32_u24_e32 v0, 0x625, v69
	s_delay_alu instid0(VALU_DEP_1) | instskip(NEXT) | instid1(VALU_DEP_1)
	v_lshrrev_b32_e32 v0, 16, v0
	v_sub_nc_u16 v1, v87, v0
	s_delay_alu instid0(VALU_DEP_1) | instskip(NEXT) | instid1(VALU_DEP_1)
	v_lshrrev_b16 v1, 1, v1
	v_add_nc_u16 v0, v1, v0
	s_delay_alu instid0(VALU_DEP_1) | instskip(NEXT) | instid1(VALU_DEP_1)
	v_lshrrev_b16 v0, 6, v0
	v_mul_lo_u16 v0, 0x7d, v0
	s_delay_alu instid0(VALU_DEP_1) | instskip(NEXT) | instid1(VALU_DEP_1)
	v_sub_nc_u16 v33, v87, v0
	v_lshlrev_b16 v0, 6, v33
	s_delay_alu instid0(VALU_DEP_1) | instskip(NEXT) | instid1(VALU_DEP_1)
	v_and_b32_e32 v0, 0xffff, v0
	v_add_co_u32 v10, s22, s10, v0
	s_wait_alu 0xf1ff
	v_add_co_ci_u32_e64 v11, null, s11, 0, s22
	ds_load_b128 v[0:3], v8 offset:14000
	global_load_b128 v[14:17], v[10:11], off offset:1920
	s_wait_loadcnt_dscnt 0x0
	v_mul_f64_e32 v[12:13], v[2:3], v[16:17]
	scratch_store_b128 off, v[14:17], off offset:1332 ; 16-byte Folded Spill
	v_fma_f64 v[84:85], v[0:1], v[14:15], -v[12:13]
	v_mul_f64_e32 v[0:1], v[0:1], v[16:17]
	s_delay_alu instid0(VALU_DEP_1)
	v_fma_f64 v[89:90], v[2:3], v[14:15], v[0:1]
	global_load_b128 v[14:17], v[10:11], off offset:1936
	ds_load_b128 v[0:3], v8 offset:24000
	s_wait_loadcnt_dscnt 0x0
	v_mul_f64_e32 v[12:13], v[2:3], v[16:17]
	scratch_store_b128 off, v[14:17], off offset:1348 ; 16-byte Folded Spill
	v_fma_f64 v[91:92], v[0:1], v[14:15], -v[12:13]
	v_mul_f64_e32 v[0:1], v[0:1], v[16:17]
	s_delay_alu instid0(VALU_DEP_1)
	v_fma_f64 v[96:97], v[2:3], v[14:15], v[0:1]
	global_load_b128 v[14:17], v[10:11], off offset:1952
	ds_load_b128 v[0:3], v8 offset:34000
	;; [unrolled: 9-line block ×3, first 2 shown]
	s_wait_loadcnt_dscnt 0x0
	v_mul_f64_e32 v[10:11], v[2:3], v[14:15]
	scratch_store_b128 off, v[12:15], off offset:1380 ; 16-byte Folded Spill
	v_fma_f64 v[138:139], v[0:1], v[12:13], -v[10:11]
	v_mul_f64_e32 v[0:1], v[0:1], v[14:15]
	s_delay_alu instid0(VALU_DEP_1) | instskip(SKIP_1) | instid1(VALU_DEP_1)
	v_fma_f64 v[148:149], v[2:3], v[12:13], v[0:1]
	v_mul_u32_u24_e32 v0, 0x625, v68
	v_lshrrev_b32_e32 v0, 16, v0
	s_delay_alu instid0(VALU_DEP_1) | instskip(NEXT) | instid1(VALU_DEP_1)
	v_sub_nc_u16 v1, v9, v0
	v_lshrrev_b16 v1, 1, v1
	s_delay_alu instid0(VALU_DEP_1) | instskip(NEXT) | instid1(VALU_DEP_1)
	v_add_nc_u16 v0, v1, v0
	v_lshrrev_b16 v0, 6, v0
	s_delay_alu instid0(VALU_DEP_1) | instskip(NEXT) | instid1(VALU_DEP_1)
	v_mul_lo_u16 v0, 0x7d, v0
	v_sub_nc_u16 v34, v9, v0
	s_delay_alu instid0(VALU_DEP_1) | instskip(NEXT) | instid1(VALU_DEP_1)
	v_lshlrev_b16 v0, 6, v34
	v_and_b32_e32 v0, 0xffff, v0
	s_delay_alu instid0(VALU_DEP_1)
	v_add_co_u32 v10, s22, s10, v0
	s_wait_alu 0xf1ff
	v_add_co_ci_u32_e64 v11, null, s11, 0, s22
	ds_load_b128 v[0:3], v8 offset:16000
	global_load_b128 v[14:17], v[10:11], off offset:1920
	s_wait_loadcnt_dscnt 0x0
	v_mul_f64_e32 v[12:13], v[2:3], v[16:17]
	scratch_store_b128 off, v[14:17], off offset:1424 ; 16-byte Folded Spill
	v_fma_f64 v[26:27], v[0:1], v[14:15], -v[12:13]
	v_mul_f64_e32 v[0:1], v[0:1], v[16:17]
	s_delay_alu instid0(VALU_DEP_1)
	v_fma_f64 v[24:25], v[2:3], v[14:15], v[0:1]
	global_load_b128 v[14:17], v[10:11], off offset:1936
	ds_load_b128 v[0:3], v8 offset:26000
	s_wait_loadcnt_dscnt 0x0
	v_mul_f64_e32 v[12:13], v[2:3], v[16:17]
	scratch_store_b128 off, v[14:17], off offset:1440 ; 16-byte Folded Spill
	v_fma_f64 v[54:55], v[0:1], v[14:15], -v[12:13]
	v_mul_f64_e32 v[0:1], v[0:1], v[16:17]
	s_delay_alu instid0(VALU_DEP_1)
	v_fma_f64 v[28:29], v[2:3], v[14:15], v[0:1]
	global_load_b128 v[14:17], v[10:11], off offset:1952
	ds_load_b128 v[0:3], v8 offset:36000
	;; [unrolled: 9-line block ×3, first 2 shown]
	s_wait_loadcnt_dscnt 0x0
	v_mul_f64_e32 v[10:11], v[2:3], v[14:15]
	scratch_store_b128 off, v[12:15], off offset:1472 ; 16-byte Folded Spill
	v_fma_f64 v[68:69], v[0:1], v[12:13], -v[10:11]
	v_mul_f64_e32 v[0:1], v[0:1], v[14:15]
	s_delay_alu instid0(VALU_DEP_1) | instskip(SKIP_3) | instid1(VALU_DEP_1)
	v_fma_f64 v[94:95], v[2:3], v[12:13], v[0:1]
	v_mul_u32_u24_e32 v0, 0x625, v129
	ds_load_b128 v[128:131], v8 offset:2000
	v_lshrrev_b32_e32 v0, 16, v0
	v_sub_nc_u16 v1, v88, v0
	s_delay_alu instid0(VALU_DEP_1) | instskip(NEXT) | instid1(VALU_DEP_1)
	v_lshrrev_b16 v1, 1, v1
	v_add_nc_u16 v0, v1, v0
	s_delay_alu instid0(VALU_DEP_1) | instskip(NEXT) | instid1(VALU_DEP_1)
	v_lshrrev_b16 v0, 6, v0
	v_mul_lo_u16 v0, 0x7d, v0
	s_delay_alu instid0(VALU_DEP_1) | instskip(NEXT) | instid1(VALU_DEP_1)
	v_sub_nc_u16 v35, v88, v0
	v_lshlrev_b16 v0, 6, v35
	s_delay_alu instid0(VALU_DEP_1) | instskip(NEXT) | instid1(VALU_DEP_1)
	v_and_b32_e32 v0, 0xffff, v0
	v_add_co_u32 v20, s22, s10, v0
	s_wait_alu 0xf1ff
	v_add_co_ci_u32_e64 v21, null, s11, 0, s22
	ds_load_b128 v[0:3], v8 offset:18000
	s_clause 0x3
	global_load_b128 v[252:255], v[20:21], off offset:1936
	global_load_b128 v[12:15], v[20:21], off offset:1920
	global_load_b128 v[248:251], v[20:21], off offset:1952
	global_load_b128 v[244:247], v[20:21], off offset:1968
	s_wait_loadcnt_dscnt 0x200
	v_mul_f64_e32 v[10:11], v[2:3], v[14:15]
	scratch_store_b128 off, v[12:15], off offset:1500 ; 16-byte Folded Spill
	v_fma_f64 v[10:11], v[0:1], v[12:13], -v[10:11]
	v_mul_f64_e32 v[0:1], v[0:1], v[14:15]
	s_delay_alu instid0(VALU_DEP_1) | instskip(SKIP_3) | instid1(VALU_DEP_1)
	v_fma_f64 v[30:31], v[2:3], v[12:13], v[0:1]
	ds_load_b128 v[0:3], v8 offset:28000
	s_wait_dscnt 0x0
	v_mul_f64_e32 v[12:13], v[2:3], v[254:255]
	v_fma_f64 v[18:19], v[0:1], v[252:253], -v[12:13]
	v_mul_f64_e32 v[0:1], v[0:1], v[254:255]
	s_delay_alu instid0(VALU_DEP_1) | instskip(SKIP_3) | instid1(VALU_DEP_1)
	v_fma_f64 v[12:13], v[2:3], v[252:253], v[0:1]
	ds_load_b128 v[0:3], v8 offset:38000
	s_wait_loadcnt_dscnt 0x100
	v_mul_f64_e32 v[14:15], v[2:3], v[250:251]
	v_fma_f64 v[16:17], v[0:1], v[248:249], -v[14:15]
	v_mul_f64_e32 v[0:1], v[0:1], v[250:251]
	s_delay_alu instid0(VALU_DEP_1) | instskip(SKIP_3) | instid1(VALU_DEP_1)
	v_fma_f64 v[14:15], v[2:3], v[248:249], v[0:1]
	ds_load_b128 v[0:3], v8 offset:48000
	s_wait_loadcnt_dscnt 0x0
	v_mul_f64_e32 v[20:21], v[2:3], v[246:247]
	v_fma_f64 v[20:21], v[0:1], v[244:245], -v[20:21]
	v_mul_f64_e32 v[0:1], v[0:1], v[246:247]
	s_delay_alu instid0(VALU_DEP_1) | instskip(SKIP_2) | instid1(VALU_DEP_1)
	v_fma_f64 v[22:23], v[2:3], v[244:245], v[0:1]
	v_add_f64_e64 v[0:1], v[4:5], -v[48:49]
	v_add_f64_e64 v[2:3], v[62:63], -v[58:59]
	v_add_f64_e32 v[0:1], v[0:1], v[2:3]
	v_add_f64_e64 v[2:3], v[6:7], -v[56:57]
	s_delay_alu instid0(VALU_DEP_1) | instskip(SKIP_1) | instid1(VALU_DEP_2)
	v_add_f64_e32 v[2:3], v[2:3], v[36:37]
	v_add_f64_e32 v[36:37], v[48:49], v[58:59]
	v_fma_f64 v[42:43], v[2:3], s[16:17], v[42:43]
	s_delay_alu instid0(VALU_DEP_2) | instskip(SKIP_2) | instid1(VALU_DEP_3)
	v_fma_f64 v[36:37], v[36:37], -0.5, v[44:45]
	v_fma_f64 v[38:39], v[2:3], s[16:17], v[38:39]
	v_add_f64_e32 v[2:3], v[6:7], v[64:65]
	v_fma_f64 v[40:41], v[120:121], s[18:19], v[36:37]
	v_fma_f64 v[36:37], v[120:121], s[20:21], v[36:37]
	s_delay_alu instid0(VALU_DEP_3) | instskip(SKIP_4) | instid1(VALU_DEP_4)
	v_fma_f64 v[2:3], v[2:3], -0.5, v[46:47]
	v_add_f64_e32 v[46:47], v[46:47], v[6:7]
	v_add_f64_e64 v[6:7], v[56:57], -v[6:7]
	v_fma_f64 v[40:41], v[122:123], s[12:13], v[40:41]
	v_fma_f64 v[36:37], v[122:123], s[14:15], v[36:37]
	v_add_f64_e32 v[46:47], v[46:47], v[56:57]
	v_add_f64_e64 v[56:57], v[60:61], -v[64:65]
	s_delay_alu instid0(VALU_DEP_4) | instskip(NEXT) | instid1(VALU_DEP_4)
	v_fma_f64 v[40:41], v[0:1], s[16:17], v[40:41]
	v_fma_f64 v[36:37], v[0:1], s[16:17], v[36:37]
	v_add_f64_e32 v[0:1], v[4:5], v[62:63]
	v_add_f64_e32 v[46:47], v[46:47], v[60:61]
	v_fma_f64 v[60:61], v[126:127], s[18:19], v[2:3]
	v_fma_f64 v[2:3], v[126:127], s[20:21], v[2:3]
	v_add_f64_e32 v[6:7], v[6:7], v[56:57]
	v_fma_f64 v[0:1], v[0:1], -0.5, v[44:45]
	v_add_f64_e32 v[44:45], v[44:45], v[4:5]
	v_add_f64_e64 v[4:5], v[48:49], -v[4:5]
	v_fma_f64 v[2:3], v[124:125], s[12:13], v[2:3]
	v_fma_f64 v[56:57], v[124:125], s[14:15], v[60:61]
	v_add_f64_e64 v[60:61], v[66:67], -v[80:81]
	v_add_f64_e32 v[46:47], v[46:47], v[64:65]
	v_add_f64_e32 v[44:45], v[44:45], v[48:49]
	v_add_f64_e64 v[48:49], v[58:59], -v[62:63]
	v_fma_f64 v[126:127], v[6:7], s[16:17], v[2:3]
	v_add_f64_e64 v[2:3], v[80:81], -v[76:77]
	s_delay_alu instid0(VALU_DEP_4)
	v_add_f64_e32 v[44:45], v[44:45], v[58:59]
	v_fma_f64 v[58:59], v[122:123], s[20:21], v[0:1]
	v_fma_f64 v[0:1], v[122:123], s[18:19], v[0:1]
	v_add_f64_e32 v[4:5], v[4:5], v[48:49]
	v_fma_f64 v[122:123], v[6:7], s[16:17], v[56:57]
	v_add_f64_e32 v[6:7], v[74:75], v[78:79]
	v_add_f64_e64 v[56:57], v[74:75], -v[78:79]
	v_add_f64_e32 v[44:45], v[44:45], v[62:63]
	v_fma_f64 v[48:49], v[120:121], s[12:13], v[58:59]
	v_fma_f64 v[0:1], v[120:121], s[14:15], v[0:1]
	v_add_f64_e64 v[62:63], v[72:73], -v[76:77]
	v_fma_f64 v[6:7], v[6:7], -0.5, v[130:131]
	s_delay_alu instid0(VALU_DEP_4) | instskip(NEXT) | instid1(VALU_DEP_4)
	v_fma_f64 v[120:121], v[4:5], s[16:17], v[48:49]
	v_fma_f64 v[124:125], v[4:5], s[16:17], v[0:1]
	v_add_f64_e64 v[0:1], v[66:67], -v[72:73]
	v_add_f64_e64 v[4:5], v[82:83], -v[78:79]
	;; [unrolled: 1-line block ×3, first 2 shown]
	v_fma_f64 v[64:65], v[60:61], s[20:21], v[6:7]
	v_fma_f64 v[6:7], v[60:61], s[18:19], v[6:7]
	v_add_f64_e32 v[0:1], v[0:1], v[2:3]
	v_add_f64_e64 v[2:3], v[70:71], -v[74:75]
	s_delay_alu instid0(VALU_DEP_4) | instskip(NEXT) | instid1(VALU_DEP_4)
	v_fma_f64 v[64:65], v[62:63], s[14:15], v[64:65]
	v_fma_f64 v[6:7], v[62:63], s[12:13], v[6:7]
	s_delay_alu instid0(VALU_DEP_3) | instskip(SKIP_1) | instid1(VALU_DEP_2)
	v_add_f64_e32 v[2:3], v[2:3], v[4:5]
	v_add_f64_e32 v[4:5], v[72:73], v[76:77]
	v_fma_f64 v[142:143], v[2:3], s[16:17], v[6:7]
	s_delay_alu instid0(VALU_DEP_2)
	v_fma_f64 v[4:5], v[4:5], -0.5, v[128:129]
	v_add_f64_e32 v[6:7], v[130:131], v[70:71]
	v_fma_f64 v[134:135], v[2:3], s[16:17], v[64:65]
	v_add_f64_e32 v[2:3], v[70:71], v[82:83]
	v_add_f64_e64 v[64:65], v[74:75], -v[70:71]
	v_add_f64_e64 v[70:71], v[54:55], -v[52:53]
	v_fma_f64 v[58:59], v[48:49], s[18:19], v[4:5]
	v_fma_f64 v[4:5], v[48:49], s[20:21], v[4:5]
	v_add_f64_e32 v[6:7], v[6:7], v[74:75]
	v_fma_f64 v[2:3], v[2:3], -0.5, v[130:131]
	s_delay_alu instid0(VALU_DEP_4) | instskip(NEXT) | instid1(VALU_DEP_4)
	v_fma_f64 v[58:59], v[56:57], s[12:13], v[58:59]
	v_fma_f64 v[4:5], v[56:57], s[14:15], v[4:5]
	s_delay_alu instid0(VALU_DEP_4) | instskip(NEXT) | instid1(VALU_DEP_3)
	v_add_f64_e32 v[6:7], v[6:7], v[78:79]
	v_fma_f64 v[132:133], v[0:1], s[16:17], v[58:59]
	s_delay_alu instid0(VALU_DEP_3)
	v_fma_f64 v[140:141], v[0:1], s[16:17], v[4:5]
	v_add_f64_e32 v[4:5], v[128:129], v[66:67]
	v_add_f64_e32 v[0:1], v[66:67], v[80:81]
	v_add_f64_e64 v[58:59], v[72:73], -v[66:67]
	v_add_f64_e64 v[66:67], v[76:77], -v[80:81]
	v_add_f64_e32 v[130:131], v[6:7], v[82:83]
	v_add_f64_e32 v[4:5], v[4:5], v[72:73]
	v_fma_f64 v[0:1], v[0:1], -0.5, v[128:129]
	s_delay_alu instid0(VALU_DEP_4) | instskip(SKIP_1) | instid1(VALU_DEP_4)
	v_add_f64_e32 v[58:59], v[58:59], v[66:67]
	v_add_f64_e64 v[66:67], v[98:99], -v[138:139]
	v_add_f64_e32 v[4:5], v[4:5], v[76:77]
	s_delay_alu instid0(VALU_DEP_4)
	v_fma_f64 v[6:7], v[56:57], s[20:21], v[0:1]
	v_fma_f64 v[0:1], v[56:57], s[18:19], v[0:1]
	;; [unrolled: 1-line block ×4, first 2 shown]
	v_add_f64_e64 v[62:63], v[91:92], -v[98:99]
	v_add_f64_e32 v[128:129], v[4:5], v[80:81]
	v_add_f64_e64 v[4:5], v[78:79], -v[82:83]
	v_fma_f64 v[0:1], v[48:49], s[14:15], v[0:1]
	v_fma_f64 v[6:7], v[48:49], s[12:13], v[6:7]
	;; [unrolled: 1-line block ×4, first 2 shown]
	v_add_f64_e64 v[60:61], v[84:85], -v[138:139]
	v_add_f64_e64 v[56:57], v[96:97], -v[136:137]
	v_add_f64_e32 v[4:5], v[64:65], v[4:5]
	v_fma_f64 v[212:213], v[58:59], s[16:17], v[0:1]
	v_add_f64_e64 v[0:1], v[84:85], -v[91:92]
	v_fma_f64 v[144:145], v[58:59], s[16:17], v[6:7]
	v_add_f64_e32 v[6:7], v[96:97], v[136:137]
	v_fma_f64 v[214:215], v[4:5], s[16:17], v[2:3]
	v_add_f64_e64 v[2:3], v[138:139], -v[98:99]
	v_fma_f64 v[146:147], v[4:5], s[16:17], v[48:49]
	v_add_f64_e64 v[4:5], v[148:149], -v[136:137]
	v_fma_f64 v[6:7], v[6:7], -0.5, v[218:219]
	v_add_f64_e64 v[48:49], v[89:90], -v[148:149]
	v_add_f64_e32 v[0:1], v[0:1], v[2:3]
	v_add_f64_e64 v[2:3], v[89:90], -v[96:97]
	s_delay_alu instid0(VALU_DEP_4) | instskip(SKIP_1) | instid1(VALU_DEP_3)
	v_fma_f64 v[64:65], v[60:61], s[20:21], v[6:7]
	v_fma_f64 v[6:7], v[60:61], s[18:19], v[6:7]
	v_add_f64_e32 v[2:3], v[2:3], v[4:5]
	v_add_f64_e32 v[4:5], v[91:92], v[98:99]
	s_delay_alu instid0(VALU_DEP_4) | instskip(NEXT) | instid1(VALU_DEP_4)
	v_fma_f64 v[64:65], v[62:63], s[14:15], v[64:65]
	v_fma_f64 v[6:7], v[62:63], s[12:13], v[6:7]
	s_delay_alu instid0(VALU_DEP_3) | instskip(NEXT) | instid1(VALU_DEP_3)
	v_fma_f64 v[4:5], v[4:5], -0.5, v[216:217]
	v_fma_f64 v[222:223], v[2:3], s[16:17], v[64:65]
	s_delay_alu instid0(VALU_DEP_3)
	v_fma_f64 v[226:227], v[2:3], s[16:17], v[6:7]
	v_add_f64_e32 v[6:7], v[218:219], v[89:90]
	v_add_f64_e32 v[2:3], v[89:90], v[148:149]
	v_add_f64_e64 v[64:65], v[96:97], -v[89:90]
	v_fma_f64 v[58:59], v[48:49], s[18:19], v[4:5]
	v_fma_f64 v[4:5], v[48:49], s[20:21], v[4:5]
	v_add_f64_e32 v[6:7], v[6:7], v[96:97]
	v_fma_f64 v[2:3], v[2:3], -0.5, v[218:219]
	s_delay_alu instid0(VALU_DEP_4) | instskip(NEXT) | instid1(VALU_DEP_4)
	v_fma_f64 v[58:59], v[56:57], s[12:13], v[58:59]
	v_fma_f64 v[4:5], v[56:57], s[14:15], v[4:5]
	s_delay_alu instid0(VALU_DEP_4) | instskip(NEXT) | instid1(VALU_DEP_3)
	v_add_f64_e32 v[6:7], v[6:7], v[136:137]
	v_fma_f64 v[220:221], v[0:1], s[16:17], v[58:59]
	s_delay_alu instid0(VALU_DEP_3) | instskip(SKIP_4) | instid1(VALU_DEP_4)
	v_fma_f64 v[224:225], v[0:1], s[16:17], v[4:5]
	v_add_f64_e32 v[4:5], v[216:217], v[84:85]
	v_add_f64_e32 v[0:1], v[84:85], v[138:139]
	v_add_f64_e64 v[58:59], v[91:92], -v[84:85]
	v_add_f64_e32 v[218:219], v[6:7], v[148:149]
	v_add_f64_e32 v[4:5], v[4:5], v[91:92]
	s_delay_alu instid0(VALU_DEP_4) | instskip(NEXT) | instid1(VALU_DEP_4)
	v_fma_f64 v[0:1], v[0:1], -0.5, v[216:217]
	v_add_f64_e32 v[58:59], v[58:59], v[66:67]
	v_add_f64_e64 v[66:67], v[26:27], -v[68:69]
	s_delay_alu instid0(VALU_DEP_4) | instskip(NEXT) | instid1(VALU_DEP_4)
	v_add_f64_e32 v[4:5], v[4:5], v[98:99]
	v_fma_f64 v[6:7], v[56:57], s[20:21], v[0:1]
	v_fma_f64 v[0:1], v[56:57], s[18:19], v[0:1]
	;; [unrolled: 1-line block ×4, first 2 shown]
	v_add_f64_e64 v[62:63], v[24:25], -v[94:95]
	v_add_f64_e32 v[216:217], v[4:5], v[138:139]
	v_add_f64_e64 v[4:5], v[136:137], -v[148:149]
	v_fma_f64 v[0:1], v[48:49], s[14:15], v[0:1]
	v_fma_f64 v[6:7], v[48:49], s[12:13], v[6:7]
	;; [unrolled: 1-line block ×4, first 2 shown]
	v_add_f64_e32 v[4:5], v[64:65], v[4:5]
	v_fma_f64 v[236:237], v[58:59], s[16:17], v[0:1]
	v_add_f64_e64 v[0:1], v[26:27], -v[54:55]
	v_fma_f64 v[232:233], v[58:59], s[16:17], v[6:7]
	v_add_f64_e64 v[64:65], v[28:29], -v[50:51]
	;; [unrolled: 2-line block ×3, first 2 shown]
	v_fma_f64 v[234:235], v[4:5], s[16:17], v[48:49]
	v_add_f64_e32 v[4:5], v[54:55], v[52:53]
	s_delay_alu instid0(VALU_DEP_3) | instskip(SKIP_2) | instid1(VALU_DEP_1)
	v_add_f64_e32 v[48:49], v[0:1], v[2:3]
	v_add_f64_e64 v[0:1], v[24:25], -v[28:29]
	v_add_f64_e64 v[2:3], v[94:95], -v[50:51]
	v_add_f64_e32 v[56:57], v[0:1], v[2:3]
	ds_load_b128 v[0:3], v8 offset:6000
	s_wait_dscnt 0x0
	v_fma_f64 v[58:59], v[4:5], -0.5, v[0:1]
	v_add_f64_e32 v[4:5], v[28:29], v[50:51]
	s_delay_alu instid0(VALU_DEP_1) | instskip(NEXT) | instid1(VALU_DEP_3)
	v_fma_f64 v[60:61], v[4:5], -0.5, v[2:3]
	v_fma_f64 v[4:5], v[62:63], s[18:19], v[58:59]
	v_fma_f64 v[58:59], v[62:63], s[20:21], v[58:59]
	s_delay_alu instid0(VALU_DEP_3) | instskip(SKIP_1) | instid1(VALU_DEP_4)
	v_fma_f64 v[6:7], v[66:67], s[20:21], v[60:61]
	v_fma_f64 v[60:61], v[66:67], s[18:19], v[60:61]
	;; [unrolled: 1-line block ×3, first 2 shown]
	s_delay_alu instid0(VALU_DEP_4) | instskip(NEXT) | instid1(VALU_DEP_4)
	v_fma_f64 v[58:59], v[64:65], s[14:15], v[58:59]
	v_fma_f64 v[6:7], v[70:71], s[14:15], v[6:7]
	s_delay_alu instid0(VALU_DEP_4) | instskip(NEXT) | instid1(VALU_DEP_4)
	v_fma_f64 v[60:61], v[70:71], s[12:13], v[60:61]
	v_fma_f64 v[4:5], v[48:49], s[16:17], v[4:5]
	s_delay_alu instid0(VALU_DEP_4)
	v_fma_f64 v[160:161], v[48:49], s[16:17], v[58:59]
	v_add_f64_e32 v[48:49], v[26:27], v[68:69]
	v_add_f64_e32 v[58:59], v[18:19], v[16:17]
	v_fma_f64 v[6:7], v[56:57], s[16:17], v[6:7]
	v_fma_f64 v[162:163], v[56:57], s[16:17], v[60:61]
	v_add_f64_e32 v[56:57], v[24:25], v[94:95]
	v_add_f64_e32 v[60:61], v[12:13], v[14:15]
	v_fma_f64 v[48:49], v[48:49], -0.5, v[0:1]
	v_add_f64_e32 v[0:1], v[0:1], v[26:27]
	v_add_f64_e64 v[26:27], v[54:55], -v[26:27]
	v_fma_f64 v[56:57], v[56:57], -0.5, v[2:3]
	v_add_f64_e32 v[2:3], v[2:3], v[24:25]
	v_add_f64_e64 v[24:25], v[28:29], -v[24:25]
	v_add_f64_e32 v[0:1], v[0:1], v[54:55]
	s_delay_alu instid0(VALU_DEP_4) | instskip(NEXT) | instid1(VALU_DEP_4)
	v_fma_f64 v[54:55], v[70:71], s[18:19], v[56:57]
	v_add_f64_e32 v[2:3], v[2:3], v[28:29]
	v_add_f64_e64 v[28:29], v[52:53], -v[68:69]
	s_delay_alu instid0(VALU_DEP_4)
	v_add_f64_e32 v[0:1], v[0:1], v[52:53]
	v_fma_f64 v[52:53], v[64:65], s[20:21], v[48:49]
	v_fma_f64 v[48:49], v[64:65], s[18:19], v[48:49]
	;; [unrolled: 1-line block ×3, first 2 shown]
	v_add_f64_e64 v[64:65], v[12:13], -v[14:15]
	v_add_f64_e64 v[70:71], v[18:19], -v[16:17]
	v_add_f64_e32 v[2:3], v[2:3], v[50:51]
	v_add_f64_e64 v[50:51], v[50:51], -v[94:95]
	v_add_f64_e32 v[28:29], v[26:27], v[28:29]
	v_fma_f64 v[26:27], v[66:67], s[14:15], v[54:55]
	v_fma_f64 v[48:49], v[62:63], s[14:15], v[48:49]
	v_add_f64_e64 v[54:55], v[22:23], -v[14:15]
	v_add_f64_e32 v[0:1], v[0:1], v[68:69]
	v_add_f64_e64 v[68:69], v[10:11], -v[20:21]
	v_add_f64_e32 v[2:3], v[2:3], v[94:95]
	v_add_f64_e32 v[50:51], v[24:25], v[50:51]
	v_fma_f64 v[24:25], v[62:63], s[12:13], v[52:53]
	v_fma_f64 v[52:53], v[66:67], s[12:13], v[56:57]
	;; [unrolled: 1-line block ×3, first 2 shown]
	v_add_f64_e64 v[62:63], v[30:31], -v[22:23]
	v_fma_f64 v[26:27], v[50:51], s[16:17], v[26:27]
	v_fma_f64 v[24:25], v[28:29], s[16:17], v[24:25]
	;; [unrolled: 1-line block ×3, first 2 shown]
	v_add_f64_e64 v[28:29], v[10:11], -v[18:19]
	v_add_f64_e64 v[52:53], v[20:21], -v[16:17]
	s_delay_alu instid0(VALU_DEP_1) | instskip(SKIP_1) | instid1(VALU_DEP_1)
	v_add_f64_e32 v[28:29], v[28:29], v[52:53]
	v_add_f64_e64 v[52:53], v[30:31], -v[12:13]
	v_add_f64_e32 v[56:57], v[52:53], v[54:55]
	ds_load_b128 v[52:55], v8 offset:8000
	global_wb scope:SCOPE_SE
	s_wait_storecnt_dscnt 0x0
	s_barrier_signal -1
	s_barrier_wait -1
	global_inv scope:SCOPE_SE
	ds_store_b128 v8, v[44:47]
	ds_store_b128 v8, v[128:131] offset:10000
	ds_store_b128 v8, v[40:43] offset:2000
	;; [unrolled: 1-line block ×9, first 2 shown]
	v_fma_f64 v[58:59], v[58:59], -0.5, v[52:53]
	v_fma_f64 v[60:61], v[60:61], -0.5, v[54:55]
	s_delay_alu instid0(VALU_DEP_2) | instskip(NEXT) | instid1(VALU_DEP_2)
	v_fma_f64 v[66:67], v[62:63], s[18:19], v[58:59]
	v_fma_f64 v[72:73], v[68:69], s[20:21], v[60:61]
	v_fma_f64 v[58:59], v[62:63], s[20:21], v[58:59]
	v_fma_f64 v[60:61], v[68:69], s[18:19], v[60:61]
	s_delay_alu instid0(VALU_DEP_4) | instskip(NEXT) | instid1(VALU_DEP_4)
	v_fma_f64 v[66:67], v[64:65], s[12:13], v[66:67]
	v_fma_f64 v[72:73], v[70:71], s[14:15], v[72:73]
	s_delay_alu instid0(VALU_DEP_4) | instskip(NEXT) | instid1(VALU_DEP_4)
	v_fma_f64 v[58:59], v[64:65], s[14:15], v[58:59]
	v_fma_f64 v[60:61], v[70:71], s[12:13], v[60:61]
	;; [unrolled: 3-line block ×4, first 2 shown]
	v_add_f64_e32 v[28:29], v[10:11], v[20:21]
	v_add_f64_e32 v[56:57], v[30:31], v[22:23]
	v_add_f64_e64 v[58:59], v[18:19], -v[10:11]
	s_delay_alu instid0(VALU_DEP_3) | instskip(NEXT) | instid1(VALU_DEP_3)
	v_fma_f64 v[28:29], v[28:29], -0.5, v[52:53]
	v_fma_f64 v[56:57], v[56:57], -0.5, v[54:55]
	v_add_f64_e32 v[52:53], v[52:53], v[10:11]
	v_add_f64_e32 v[54:55], v[54:55], v[30:31]
	v_add_f64_e64 v[30:31], v[12:13], -v[30:31]
	s_delay_alu instid0(VALU_DEP_3) | instskip(NEXT) | instid1(VALU_DEP_3)
	v_add_f64_e32 v[10:11], v[52:53], v[18:19]
	v_add_f64_e32 v[18:19], v[54:55], v[12:13]
	s_delay_alu instid0(VALU_DEP_2) | instskip(NEXT) | instid1(VALU_DEP_2)
	v_add_f64_e32 v[10:11], v[10:11], v[16:17]
	v_add_f64_e32 v[12:13], v[18:19], v[14:15]
	v_add_f64_e64 v[16:17], v[16:17], -v[20:21]
	v_add_f64_e64 v[14:15], v[14:15], -v[22:23]
	v_fma_f64 v[18:19], v[64:65], s[20:21], v[28:29]
	v_add_f64_e32 v[10:11], v[10:11], v[20:21]
	v_add_f64_e32 v[12:13], v[12:13], v[22:23]
	v_fma_f64 v[22:23], v[70:71], s[18:19], v[56:57]
	v_fma_f64 v[20:21], v[64:65], s[18:19], v[28:29]
	;; [unrolled: 1-line block ×3, first 2 shown]
	v_add_f64_e32 v[52:53], v[58:59], v[16:17]
	v_add_f64_e32 v[30:31], v[30:31], v[14:15]
	v_fma_f64 v[14:15], v[62:63], s[12:13], v[18:19]
	v_fma_f64 v[16:17], v[68:69], s[14:15], v[22:23]
	;; [unrolled: 1-line block ×4, first 2 shown]
	v_and_b32_e32 v22, 0xffff, v33
	v_fma_f64 v[14:15], v[52:53], s[16:17], v[14:15]
	s_delay_alu instid0(VALU_DEP_2)
	v_lshlrev_b32_e32 v22, 4, v22
	ds_store_b128 v22, v[216:219] offset:20000
	ds_store_b128 v22, v[220:223] offset:22000
	;; [unrolled: 1-line block ×4, first 2 shown]
	v_dual_mov_b32 v23, v22 :: v_dual_and_b32 v22, 0xffff, v34
	s_delay_alu instid0(VALU_DEP_1)
	v_lshlrev_b32_e32 v22, 4, v22
	s_clause 0x1
	scratch_store_b32 off, v23, off offset:1488
	scratch_store_b32 off, v22, off offset:1396
	ds_store_b128 v22, v[0:3] offset:30000
	ds_store_b128 v22, v[4:7] offset:32000
	;; [unrolled: 1-line block ×6, first 2 shown]
	v_and_b32_e32 v0, 0xffff, v35
	s_delay_alu instid0(VALU_DEP_1)
	v_lshlrev_b32_e32 v135, 4, v0
	v_fma_f64 v[16:17], v[30:31], s[16:17], v[16:17]
	v_fma_f64 v[18:19], v[52:53], s[16:17], v[18:19]
	;; [unrolled: 1-line block ×3, first 2 shown]
	ds_store_b128 v135, v[10:13] offset:40000
	ds_store_b128 v135, v[136:139] offset:42000
	;; [unrolled: 1-line block ×5, first 2 shown]
	global_wb scope:SCOPE_SE
	s_wait_storecnt_dscnt 0x0
	s_barrier_signal -1
	s_barrier_wait -1
	global_inv scope:SCOPE_SE
	global_load_b128 v[10:13], v32, s[10:11] offset:9920
	ds_load_b128 v[0:3], v8 offset:10000
	ds_load_b128 v[136:139], v8 offset:2000
	s_wait_loadcnt_dscnt 0x1
	v_mul_f64_e32 v[4:5], v[2:3], v[12:13]
	scratch_store_b128 off, v[10:13], off offset:1296 ; 16-byte Folded Spill
	v_fma_f64 v[6:7], v[0:1], v[10:11], -v[4:5]
	v_mul_f64_e32 v[0:1], v[0:1], v[12:13]
	s_delay_alu instid0(VALU_DEP_1)
	v_fma_f64 v[21:22], v[2:3], v[10:11], v[0:1]
	global_load_b128 v[10:13], v32, s[10:11] offset:9936
	ds_load_b128 v[0:3], v8 offset:20000
	s_wait_loadcnt_dscnt 0x0
	v_mul_f64_e32 v[4:5], v[2:3], v[12:13]
	scratch_store_b128 off, v[10:13], off offset:1168 ; 16-byte Folded Spill
	v_fma_f64 v[23:24], v[0:1], v[10:11], -v[4:5]
	v_mul_f64_e32 v[0:1], v[0:1], v[12:13]
	s_delay_alu instid0(VALU_DEP_1)
	v_fma_f64 v[25:26], v[2:3], v[10:11], v[0:1]
	global_load_b128 v[10:13], v32, s[10:11] offset:9952
	ds_load_b128 v[0:3], v8 offset:30000
	s_wait_loadcnt_dscnt 0x0
	v_mul_f64_e32 v[4:5], v[2:3], v[12:13]
	scratch_store_b128 off, v[10:13], off offset:1152 ; 16-byte Folded Spill
	v_fma_f64 v[27:28], v[0:1], v[10:11], -v[4:5]
	v_mul_f64_e32 v[0:1], v[0:1], v[12:13]
	s_delay_alu instid0(VALU_DEP_2) | instskip(NEXT) | instid1(VALU_DEP_2)
	v_add_f64_e64 v[102:103], v[23:24], -v[27:28]
	v_fma_f64 v[29:30], v[2:3], v[10:11], v[0:1]
	global_load_b128 v[10:13], v32, s[10:11] offset:9968
	ds_load_b128 v[0:3], v8 offset:40000
	v_add_f64_e64 v[98:99], v[25:26], -v[29:30]
	s_wait_loadcnt_dscnt 0x0
	v_mul_f64_e32 v[4:5], v[2:3], v[12:13]
	scratch_store_b128 off, v[10:13], off offset:1136 ; 16-byte Folded Spill
	v_fma_f64 v[31:32], v[0:1], v[10:11], -v[4:5]
	v_mul_f64_e32 v[0:1], v[0:1], v[12:13]
	s_delay_alu instid0(VALU_DEP_2) | instskip(NEXT) | instid1(VALU_DEP_2)
	v_add_f64_e64 v[100:101], v[6:7], -v[31:32]
	v_fma_f64 v[37:38], v[2:3], v[10:11], v[0:1]
	v_lshlrev_b32_e32 v10, 6, v164
	ds_load_b128 v[0:3], v8 offset:12000
	ds_load_b128 v[164:167], v8 offset:4000
	global_load_b128 v[11:14], v10, s[10:11] offset:9920
	v_add_f64_e64 v[96:97], v[21:22], -v[37:38]
	s_wait_loadcnt_dscnt 0x1
	v_mul_f64_e32 v[4:5], v[2:3], v[13:14]
	scratch_store_b128 off, v[11:14], off offset:1312 ; 16-byte Folded Spill
	v_fma_f64 v[39:40], v[0:1], v[11:12], -v[4:5]
	v_mul_f64_e32 v[0:1], v[0:1], v[13:14]
	s_delay_alu instid0(VALU_DEP_1)
	v_fma_f64 v[41:42], v[2:3], v[11:12], v[0:1]
	global_load_b128 v[11:14], v10, s[10:11] offset:9936
	ds_load_b128 v[0:3], v8 offset:22000
	s_wait_loadcnt_dscnt 0x0
	v_mul_f64_e32 v[4:5], v[2:3], v[13:14]
	scratch_store_b128 off, v[11:14], off offset:1280 ; 16-byte Folded Spill
	v_fma_f64 v[56:57], v[0:1], v[11:12], -v[4:5]
	v_mul_f64_e32 v[0:1], v[0:1], v[13:14]
	s_delay_alu instid0(VALU_DEP_1)
	v_fma_f64 v[58:59], v[2:3], v[11:12], v[0:1]
	global_load_b128 v[11:14], v10, s[10:11] offset:9952
	ds_load_b128 v[0:3], v8 offset:32000
	;; [unrolled: 9-line block ×3, first 2 shown]
	s_wait_loadcnt_dscnt 0x0
	v_mul_f64_e32 v[4:5], v[2:3], v[12:13]
	scratch_store_b128 off, v[10:13], off offset:1248 ; 16-byte Folded Spill
	v_fma_f64 v[148:149], v[0:1], v[10:11], -v[4:5]
	v_mul_f64_e32 v[0:1], v[0:1], v[12:13]
	v_lshlrev_b32_e32 v12, 6, v87
	v_lshlrev_b32_e32 v13, 6, v9
	s_clause 0x5
	global_load_b128 v[236:239], v12, s[10:11] offset:9920
	global_load_b128 v[220:223], v12, s[10:11] offset:9936
	;; [unrolled: 1-line block ×6, first 2 shown]
	v_fma_f64 v[150:151], v[2:3], v[10:11], v[0:1]
	ds_load_b128 v[0:3], v8 offset:14000
	s_wait_loadcnt_dscnt 0x500
	v_mul_f64_e32 v[4:5], v[2:3], v[238:239]
	s_wait_loadcnt 0x1
	scratch_store_b128 off, v[43:46], off offset:1404 ; 16-byte Folded Spill
	v_fma_f64 v[33:34], v[0:1], v[236:237], -v[4:5]
	v_mul_f64_e32 v[0:1], v[0:1], v[238:239]
	s_delay_alu instid0(VALU_DEP_1) | instskip(SKIP_3) | instid1(VALU_DEP_1)
	v_fma_f64 v[66:67], v[2:3], v[236:237], v[0:1]
	ds_load_b128 v[0:3], v8 offset:24000
	s_wait_dscnt 0x0
	v_mul_f64_e32 v[10:11], v[2:3], v[222:223]
	v_fma_f64 v[19:20], v[0:1], v[220:221], -v[10:11]
	v_mul_f64_e32 v[0:1], v[0:1], v[222:223]
	s_delay_alu instid0(VALU_DEP_1) | instskip(SKIP_3) | instid1(VALU_DEP_1)
	v_fma_f64 v[84:85], v[2:3], v[220:221], v[0:1]
	ds_load_b128 v[0:3], v8 offset:34000
	s_wait_dscnt 0x0
	v_mul_f64_e32 v[10:11], v[2:3], v[234:235]
	;; [unrolled: 7-line block ×4, first 2 shown]
	v_fma_f64 v[52:53], v[0:1], v[43:44], -v[9:10]
	v_mul_f64_e32 v[0:1], v[0:1], v[45:46]
	s_clause 0x1
	global_load_b128 v[46:49], v13, s[10:11] offset:9936
	global_load_b128 v[13:16], v13, s[10:11] offset:9968
	s_wait_loadcnt 0x2
	scratch_store_b128 off, v[68:71], off offset:428 ; 16-byte Folded Spill
	v_fma_f64 v[54:55], v[2:3], v[43:44], v[0:1]
	ds_load_b128 v[0:3], v8 offset:26000
	s_wait_loadcnt_dscnt 0x100
	v_mul_f64_e32 v[9:10], v[2:3], v[48:49]
	s_wait_loadcnt 0x0
	s_clause 0x1
	scratch_store_b128 off, v[13:16], off offset:412
	scratch_store_b128 off, v[46:49], off offset:444
	v_fma_f64 v[44:45], v[0:1], v[46:47], -v[9:10]
	v_mul_f64_e32 v[0:1], v[0:1], v[48:49]
	ds_load_b128 v[9:12], v8 offset:36000
	v_fma_f64 v[48:49], v[2:3], v[46:47], v[0:1]
	s_wait_dscnt 0x0
	v_mul_f64_e32 v[0:1], v[11:12], v[70:71]
	v_lshlrev_b32_e32 v2, 6, v88
	s_delay_alu instid0(VALU_DEP_2) | instskip(SKIP_1) | instid1(VALU_DEP_1)
	v_fma_f64 v[46:47], v[9:10], v[68:69], -v[0:1]
	v_mul_f64_e32 v[0:1], v[9:10], v[70:71]
	v_fma_f64 v[50:51], v[11:12], v[68:69], v[0:1]
	ds_load_b128 v[9:12], v8 offset:46000
	s_wait_dscnt 0x0
	v_mul_f64_e32 v[0:1], v[11:12], v[15:16]
	s_delay_alu instid0(VALU_DEP_1) | instskip(SKIP_1) | instid1(VALU_DEP_1)
	v_fma_f64 v[35:36], v[9:10], v[13:14], -v[0:1]
	v_mul_f64_e32 v[0:1], v[9:10], v[15:16]
	v_fma_f64 v[78:79], v[11:12], v[13:14], v[0:1]
	global_load_b128 v[13:16], v2, s[10:11] offset:9920
	ds_load_b128 v[9:12], v8 offset:18000
	s_wait_loadcnt_dscnt 0x0
	v_mul_f64_e32 v[0:1], v[11:12], v[15:16]
	s_delay_alu instid0(VALU_DEP_1) | instskip(SKIP_1) | instid1(VALU_DEP_1)
	v_fma_f64 v[74:75], v[9:10], v[13:14], -v[0:1]
	v_mul_f64_e32 v[0:1], v[9:10], v[15:16]
	v_fma_f64 v[76:77], v[11:12], v[13:14], v[0:1]
	global_load_b128 v[9:12], v2, s[10:11] offset:9936
	scratch_store_b128 off, v[13:16], off offset:508 ; 16-byte Folded Spill
	ds_load_b128 v[13:16], v8 offset:28000
	s_wait_loadcnt 0x0
	scratch_store_b128 off, v[9:12], off offset:492 ; 16-byte Folded Spill
	s_wait_dscnt 0x0
	v_mul_f64_e32 v[0:1], v[15:16], v[11:12]
	s_delay_alu instid0(VALU_DEP_1) | instskip(SKIP_1) | instid1(VALU_DEP_1)
	v_fma_f64 v[72:73], v[13:14], v[9:10], -v[0:1]
	v_mul_f64_e32 v[0:1], v[13:14], v[11:12]
	v_fma_f64 v[94:95], v[15:16], v[9:10], v[0:1]
	global_load_b128 v[9:12], v2, s[10:11] offset:9952
	ds_load_b128 v[13:16], v8 offset:38000
	s_wait_loadcnt_dscnt 0x0
	v_mul_f64_e32 v[0:1], v[15:16], v[11:12]
	scratch_store_b128 off, v[9:12], off offset:476 ; 16-byte Folded Spill
	v_fma_f64 v[70:71], v[13:14], v[9:10], -v[0:1]
	v_mul_f64_e32 v[0:1], v[13:14], v[11:12]
	s_delay_alu instid0(VALU_DEP_1)
	v_fma_f64 v[87:88], v[15:16], v[9:10], v[0:1]
	global_load_b128 v[9:12], v2, s[10:11] offset:9968
	ds_load_b128 v[13:16], v8 offset:48000
	v_add_f64_e64 v[2:3], v[31:32], -v[27:28]
	s_wait_loadcnt_dscnt 0x0
	v_mul_f64_e32 v[0:1], v[15:16], v[11:12]
	scratch_store_b128 off, v[9:12], off offset:460 ; 16-byte Folded Spill
	v_fma_f64 v[64:65], v[13:14], v[9:10], -v[0:1]
	v_mul_f64_e32 v[0:1], v[13:14], v[11:12]
	v_add_f64_e32 v[11:12], v[25:26], v[29:30]
	s_delay_alu instid0(VALU_DEP_2)
	v_fma_f64 v[68:69], v[15:16], v[9:10], v[0:1]
	v_add_f64_e64 v[0:1], v[6:7], -v[23:24]
	v_add_f64_e64 v[9:10], v[37:38], -v[29:30]
	ds_load_b128 v[13:16], v8
	s_wait_dscnt 0x0
	v_fma_f64 v[11:12], v[11:12], -0.5, v[15:16]
	v_add_f64_e32 v[0:1], v[0:1], v[2:3]
	v_add_f64_e64 v[2:3], v[21:22], -v[25:26]
	s_delay_alu instid0(VALU_DEP_3) | instskip(SKIP_1) | instid1(VALU_DEP_3)
	v_fma_f64 v[91:92], v[100:101], s[20:21], v[11:12]
	v_fma_f64 v[11:12], v[100:101], s[18:19], v[11:12]
	v_add_f64_e32 v[2:3], v[2:3], v[9:10]
	v_add_f64_e32 v[9:10], v[23:24], v[27:28]
	s_delay_alu instid0(VALU_DEP_4) | instskip(NEXT) | instid1(VALU_DEP_4)
	v_fma_f64 v[91:92], v[102:103], s[14:15], v[91:92]
	v_fma_f64 v[11:12], v[102:103], s[12:13], v[11:12]
	s_delay_alu instid0(VALU_DEP_3) | instskip(NEXT) | instid1(VALU_DEP_3)
	v_fma_f64 v[9:10], v[9:10], -0.5, v[13:14]
	v_fma_f64 v[118:119], v[2:3], s[16:17], v[91:92]
	s_delay_alu instid0(VALU_DEP_3) | instskip(SKIP_4) | instid1(VALU_DEP_4)
	v_fma_f64 v[114:115], v[2:3], s[16:17], v[11:12]
	v_add_f64_e32 v[11:12], v[15:16], v[21:22]
	v_add_f64_e32 v[2:3], v[21:22], v[37:38]
	v_fma_f64 v[89:90], v[96:97], s[18:19], v[9:10]
	v_fma_f64 v[9:10], v[96:97], s[20:21], v[9:10]
	v_add_f64_e32 v[11:12], v[11:12], v[25:26]
	s_delay_alu instid0(VALU_DEP_4) | instskip(SKIP_4) | instid1(VALU_DEP_3)
	v_fma_f64 v[2:3], v[2:3], -0.5, v[15:16]
	v_add_f64_e64 v[15:16], v[27:28], -v[31:32]
	v_fma_f64 v[89:90], v[98:99], s[12:13], v[89:90]
	v_fma_f64 v[9:10], v[98:99], s[14:15], v[9:10]
	v_add_f64_e32 v[11:12], v[11:12], v[29:30]
	v_fma_f64 v[116:117], v[0:1], s[16:17], v[89:90]
	s_delay_alu instid0(VALU_DEP_3) | instskip(SKIP_4) | instid1(VALU_DEP_4)
	v_fma_f64 v[112:113], v[0:1], s[16:17], v[9:10]
	v_add_f64_e32 v[9:10], v[13:14], v[6:7]
	v_add_f64_e32 v[0:1], v[6:7], v[31:32]
	v_add_f64_e64 v[6:7], v[23:24], -v[6:7]
	v_add_f64_e32 v[91:92], v[11:12], v[37:38]
	v_add_f64_e32 v[9:10], v[9:10], v[23:24]
	s_delay_alu instid0(VALU_DEP_4)
	v_fma_f64 v[0:1], v[0:1], -0.5, v[13:14]
	v_add_f64_e64 v[13:14], v[25:26], -v[21:22]
	v_fma_f64 v[21:22], v[102:103], s[18:19], v[2:3]
	v_fma_f64 v[2:3], v[102:103], s[20:21], v[2:3]
	v_add_f64_e32 v[6:7], v[6:7], v[15:16]
	v_add_f64_e64 v[23:24], v[56:57], -v[60:61]
	v_add_f64_e32 v[9:10], v[9:10], v[27:28]
	v_fma_f64 v[11:12], v[98:99], s[20:21], v[0:1]
	v_fma_f64 v[0:1], v[98:99], s[18:19], v[0:1]
	v_add_f64_e64 v[27:28], v[60:61], -v[148:149]
	v_fma_f64 v[2:3], v[100:101], s[12:13], v[2:3]
	v_add_f64_e32 v[89:90], v[9:10], v[31:32]
	v_add_f64_e64 v[9:10], v[29:30], -v[37:38]
	v_fma_f64 v[0:1], v[96:97], s[14:15], v[0:1]
	v_fma_f64 v[11:12], v[96:97], s[12:13], v[11:12]
	v_add_f64_e64 v[37:38], v[44:45], -v[46:47]
	s_delay_alu instid0(VALU_DEP_4) | instskip(NEXT) | instid1(VALU_DEP_4)
	v_add_f64_e32 v[9:10], v[13:14], v[9:10]
	v_fma_f64 v[104:105], v[6:7], s[16:17], v[0:1]
	v_add_f64_e64 v[0:1], v[39:40], -v[56:57]
	v_fma_f64 v[13:14], v[100:101], s[14:15], v[21:22]
	v_fma_f64 v[108:109], v[6:7], s[16:17], v[11:12]
	v_add_f64_e64 v[6:7], v[150:151], -v[62:63]
	v_add_f64_e64 v[11:12], v[41:42], -v[150:151]
	;; [unrolled: 1-line block ×3, first 2 shown]
	v_fma_f64 v[106:107], v[9:10], s[16:17], v[2:3]
	v_add_f64_e64 v[2:3], v[148:149], -v[60:61]
	v_fma_f64 v[110:111], v[9:10], s[16:17], v[13:14]
	v_add_f64_e32 v[9:10], v[58:59], v[62:63]
	v_add_f64_e64 v[13:14], v[58:59], -v[62:63]
	s_delay_alu instid0(VALU_DEP_4) | instskip(SKIP_1) | instid1(VALU_DEP_4)
	v_add_f64_e32 v[0:1], v[0:1], v[2:3]
	v_add_f64_e64 v[2:3], v[41:42], -v[58:59]
	v_fma_f64 v[9:10], v[9:10], -0.5, v[138:139]
	s_delay_alu instid0(VALU_DEP_2) | instskip(SKIP_1) | instid1(VALU_DEP_3)
	v_add_f64_e32 v[2:3], v[2:3], v[6:7]
	v_add_f64_e32 v[6:7], v[56:57], v[60:61]
	v_fma_f64 v[25:26], v[21:22], s[20:21], v[9:10]
	v_fma_f64 v[9:10], v[21:22], s[18:19], v[9:10]
	s_delay_alu instid0(VALU_DEP_3) | instskip(NEXT) | instid1(VALU_DEP_3)
	v_fma_f64 v[6:7], v[6:7], -0.5, v[136:137]
	v_fma_f64 v[25:26], v[23:24], s[14:15], v[25:26]
	s_delay_alu instid0(VALU_DEP_3) | instskip(NEXT) | instid1(VALU_DEP_3)
	v_fma_f64 v[9:10], v[23:24], s[12:13], v[9:10]
	v_fma_f64 v[15:16], v[11:12], s[18:19], v[6:7]
	;; [unrolled: 1-line block ×3, first 2 shown]
	s_delay_alu instid0(VALU_DEP_3)
	v_fma_f64 v[98:99], v[2:3], s[16:17], v[9:10]
	v_add_f64_e32 v[9:10], v[138:139], v[41:42]
	v_fma_f64 v[102:103], v[2:3], s[16:17], v[25:26]
	v_add_f64_e32 v[2:3], v[41:42], v[150:151]
	v_add_f64_e64 v[25:26], v[58:59], -v[41:42]
	v_add_f64_e64 v[41:42], v[48:49], -v[54:55]
	v_fma_f64 v[15:16], v[13:14], s[12:13], v[15:16]
	v_fma_f64 v[6:7], v[13:14], s[14:15], v[6:7]
	v_add_f64_e32 v[9:10], v[9:10], v[58:59]
	v_fma_f64 v[2:3], v[2:3], -0.5, v[138:139]
	s_delay_alu instid0(VALU_DEP_4) | instskip(NEXT) | instid1(VALU_DEP_4)
	v_fma_f64 v[100:101], v[0:1], s[16:17], v[15:16]
	v_fma_f64 v[96:97], v[0:1], s[16:17], v[6:7]
	v_add_f64_e32 v[6:7], v[136:137], v[39:40]
	v_add_f64_e32 v[0:1], v[39:40], v[148:149]
	;; [unrolled: 1-line block ×3, first 2 shown]
	v_add_f64_e64 v[15:16], v[56:57], -v[39:40]
	v_add_f64_e64 v[39:40], v[44:45], -v[52:53]
	v_add_f64_e32 v[6:7], v[6:7], v[56:57]
	v_fma_f64 v[0:1], v[0:1], -0.5, v[136:137]
	v_add_f64_e32 v[138:139], v[9:10], v[150:151]
	v_add_f64_e32 v[15:16], v[15:16], v[27:28]
	s_delay_alu instid0(VALU_DEP_4) | instskip(NEXT) | instid1(VALU_DEP_4)
	v_add_f64_e32 v[6:7], v[6:7], v[60:61]
	v_fma_f64 v[9:10], v[13:14], s[20:21], v[0:1]
	v_fma_f64 v[0:1], v[13:14], s[18:19], v[0:1]
	;; [unrolled: 1-line block ×4, first 2 shown]
	v_add_f64_e64 v[23:24], v[19:20], -v[17:18]
	v_add_f64_e32 v[136:137], v[6:7], v[148:149]
	v_add_f64_e64 v[6:7], v[62:63], -v[150:151]
	v_fma_f64 v[0:1], v[11:12], s[14:15], v[0:1]
	v_fma_f64 v[9:10], v[11:12], s[12:13], v[9:10]
	v_fma_f64 v[2:3], v[21:22], s[12:13], v[2:3]
	v_fma_f64 v[11:12], v[21:22], s[14:15], v[13:14]
	v_add_f64_e64 v[21:22], v[33:34], -v[4:5]
	v_add_f64_e64 v[13:14], v[84:85], -v[82:83]
	v_add_f64_e32 v[6:7], v[25:26], v[6:7]
	v_fma_f64 v[160:161], v[15:16], s[16:17], v[0:1]
	v_add_f64_e64 v[0:1], v[33:34], -v[19:20]
	v_fma_f64 v[148:149], v[15:16], s[16:17], v[9:10]
	v_add_f64_e32 v[9:10], v[84:85], v[82:83]
	v_fma_f64 v[162:163], v[6:7], s[16:17], v[2:3]
	v_add_f64_e64 v[2:3], v[4:5], -v[17:18]
	v_fma_f64 v[150:151], v[6:7], s[16:17], v[11:12]
	v_add_f64_e64 v[6:7], v[80:81], -v[82:83]
	v_fma_f64 v[9:10], v[9:10], -0.5, v[166:167]
	v_add_f64_e64 v[11:12], v[66:67], -v[80:81]
	v_add_f64_e32 v[0:1], v[0:1], v[2:3]
	v_add_f64_e64 v[2:3], v[66:67], -v[84:85]
	s_delay_alu instid0(VALU_DEP_4) | instskip(SKIP_1) | instid1(VALU_DEP_3)
	v_fma_f64 v[25:26], v[21:22], s[20:21], v[9:10]
	v_fma_f64 v[9:10], v[21:22], s[18:19], v[9:10]
	v_add_f64_e32 v[2:3], v[2:3], v[6:7]
	v_add_f64_e32 v[6:7], v[19:20], v[17:18]
	s_delay_alu instid0(VALU_DEP_4) | instskip(NEXT) | instid1(VALU_DEP_4)
	v_fma_f64 v[25:26], v[23:24], s[14:15], v[25:26]
	v_fma_f64 v[9:10], v[23:24], s[12:13], v[9:10]
	s_delay_alu instid0(VALU_DEP_3) | instskip(NEXT) | instid1(VALU_DEP_3)
	v_fma_f64 v[6:7], v[6:7], -0.5, v[164:165]
	v_fma_f64 v[62:63], v[2:3], s[16:17], v[25:26]
	s_delay_alu instid0(VALU_DEP_3) | instskip(SKIP_4) | instid1(VALU_DEP_4)
	v_fma_f64 v[58:59], v[2:3], s[16:17], v[9:10]
	v_add_f64_e32 v[9:10], v[166:167], v[66:67]
	v_add_f64_e32 v[2:3], v[66:67], v[80:81]
	v_fma_f64 v[15:16], v[11:12], s[18:19], v[6:7]
	v_fma_f64 v[6:7], v[11:12], s[20:21], v[6:7]
	v_add_f64_e32 v[9:10], v[9:10], v[84:85]
	s_delay_alu instid0(VALU_DEP_4) | instskip(NEXT) | instid1(VALU_DEP_4)
	v_fma_f64 v[2:3], v[2:3], -0.5, v[166:167]
	v_fma_f64 v[15:16], v[13:14], s[12:13], v[15:16]
	s_delay_alu instid0(VALU_DEP_4) | instskip(NEXT) | instid1(VALU_DEP_4)
	v_fma_f64 v[6:7], v[13:14], s[14:15], v[6:7]
	v_add_f64_e32 v[9:10], v[9:10], v[82:83]
	s_delay_alu instid0(VALU_DEP_3) | instskip(NEXT) | instid1(VALU_DEP_3)
	v_fma_f64 v[60:61], v[0:1], s[16:17], v[15:16]
	v_fma_f64 v[56:57], v[0:1], s[16:17], v[6:7]
	v_add_f64_e32 v[6:7], v[164:165], v[33:34]
	v_add_f64_e32 v[0:1], v[33:34], v[4:5]
	v_add_f64_e64 v[15:16], v[19:20], -v[33:34]
	v_add_f64_e32 v[166:167], v[9:10], v[80:81]
	v_fma_f64 v[9:10], v[23:24], s[18:19], v[2:3]
	v_fma_f64 v[2:3], v[23:24], s[20:21], v[2:3]
	v_add_f64_e64 v[33:34], v[52:53], -v[35:36]
	v_add_f64_e32 v[6:7], v[6:7], v[19:20]
	v_fma_f64 v[0:1], v[0:1], -0.5, v[164:165]
	v_add_f64_e64 v[19:20], v[84:85], -v[66:67]
	v_add_f64_e64 v[66:67], v[76:77], -v[94:95]
	v_fma_f64 v[9:10], v[21:22], s[14:15], v[9:10]
	v_fma_f64 v[2:3], v[21:22], s[12:13], v[2:3]
	v_add_f64_e32 v[6:7], v[6:7], v[17:18]
	v_add_f64_e64 v[17:18], v[17:18], -v[4:5]
	s_delay_alu instid0(VALU_DEP_2)
	v_add_f64_e32 v[164:165], v[6:7], v[4:5]
	v_add_f64_e64 v[4:5], v[82:83], -v[80:81]
	v_fma_f64 v[6:7], v[13:14], s[20:21], v[0:1]
	v_fma_f64 v[0:1], v[13:14], s[18:19], v[0:1]
	v_add_f64_e32 v[13:14], v[15:16], v[17:18]
	v_add_f64_e64 v[17:18], v[54:55], -v[78:79]
	v_add_f64_e32 v[4:5], v[19:20], v[4:5]
	v_fma_f64 v[6:7], v[11:12], s[12:13], v[6:7]
	v_fma_f64 v[0:1], v[11:12], s[14:15], v[0:1]
	v_add_f64_e32 v[11:12], v[48:49], v[50:51]
	v_add_f64_e64 v[19:20], v[48:49], -v[50:51]
	v_fma_f64 v[27:28], v[4:5], s[16:17], v[2:3]
	v_add_f64_e64 v[2:3], v[35:36], -v[46:47]
	v_fma_f64 v[25:26], v[13:14], s[16:17], v[0:1]
	;; [unrolled: 2-line block ×3, first 2 shown]
	v_add_f64_e32 v[9:10], v[44:45], v[46:47]
	v_fma_f64 v[29:30], v[13:14], s[16:17], v[6:7]
	s_delay_alu instid0(VALU_DEP_4) | instskip(SKIP_2) | instid1(VALU_DEP_1)
	v_add_f64_e32 v[4:5], v[0:1], v[2:3]
	v_add_f64_e64 v[0:1], v[54:55], -v[48:49]
	v_add_f64_e64 v[2:3], v[78:79], -v[50:51]
	v_add_f64_e32 v[6:7], v[0:1], v[2:3]
	ds_load_b128 v[0:3], v8 offset:6000
	s_wait_dscnt 0x0
	v_fma_f64 v[9:10], v[9:10], -0.5, v[0:1]
	v_fma_f64 v[11:12], v[11:12], -0.5, v[2:3]
	s_delay_alu instid0(VALU_DEP_2) | instskip(NEXT) | instid1(VALU_DEP_2)
	v_fma_f64 v[13:14], v[17:18], s[18:19], v[9:10]
	v_fma_f64 v[15:16], v[33:34], s[20:21], v[11:12]
	;; [unrolled: 1-line block ×4, first 2 shown]
	s_delay_alu instid0(VALU_DEP_4) | instskip(NEXT) | instid1(VALU_DEP_4)
	v_fma_f64 v[13:14], v[19:20], s[12:13], v[13:14]
	v_fma_f64 v[15:16], v[37:38], s[14:15], v[15:16]
	s_delay_alu instid0(VALU_DEP_4) | instskip(NEXT) | instid1(VALU_DEP_4)
	v_fma_f64 v[9:10], v[19:20], s[14:15], v[9:10]
	v_fma_f64 v[11:12], v[37:38], s[12:13], v[11:12]
	s_delay_alu instid0(VALU_DEP_4) | instskip(NEXT) | instid1(VALU_DEP_4)
	v_fma_f64 v[21:22], v[4:5], s[16:17], v[13:14]
	v_fma_f64 v[23:24], v[6:7], s[16:17], v[15:16]
	s_delay_alu instid0(VALU_DEP_4) | instskip(NEXT) | instid1(VALU_DEP_4)
	v_fma_f64 v[13:14], v[4:5], s[16:17], v[9:10]
	v_fma_f64 v[15:16], v[6:7], s[16:17], v[11:12]
	v_add_f64_e32 v[4:5], v[52:53], v[35:36]
	v_add_f64_e32 v[6:7], v[54:55], v[78:79]
	s_delay_alu instid0(VALU_DEP_2) | instskip(NEXT) | instid1(VALU_DEP_2)
	v_fma_f64 v[4:5], v[4:5], -0.5, v[0:1]
	v_fma_f64 v[6:7], v[6:7], -0.5, v[2:3]
	v_add_f64_e32 v[0:1], v[0:1], v[52:53]
	v_add_f64_e32 v[2:3], v[2:3], v[54:55]
	v_add_f64_e64 v[53:54], v[74:75], -v[64:65]
	s_delay_alu instid0(VALU_DEP_3) | instskip(NEXT) | instid1(VALU_DEP_3)
	v_add_f64_e32 v[0:1], v[0:1], v[44:45]
	v_add_f64_e32 v[2:3], v[2:3], v[48:49]
	v_add_f64_e64 v[43:44], v[46:47], -v[35:36]
	s_delay_alu instid0(VALU_DEP_3) | instskip(NEXT) | instid1(VALU_DEP_3)
	;; [unrolled: 4-line block ×3, first 2 shown]
	v_add_f64_e32 v[9:10], v[0:1], v[35:36]
	v_add_f64_e32 v[11:12], v[2:3], v[78:79]
	v_add_f64_e64 v[0:1], v[50:51], -v[78:79]
	v_fma_f64 v[2:3], v[19:20], s[20:21], v[4:5]
	v_fma_f64 v[4:5], v[19:20], s[18:19], v[4:5]
	v_fma_f64 v[19:20], v[37:38], s[18:19], v[6:7]
	v_fma_f64 v[6:7], v[37:38], s[20:21], v[6:7]
	v_add_f64_e32 v[35:36], v[39:40], v[43:44]
	v_add_f64_e64 v[51:52], v[72:73], -v[70:71]
	v_add_f64_e64 v[49:50], v[76:77], -v[68:69]
	v_add_f64_e32 v[0:1], v[41:42], v[0:1]
	v_fma_f64 v[2:3], v[17:18], s[12:13], v[2:3]
	v_fma_f64 v[4:5], v[17:18], s[14:15], v[4:5]
	;; [unrolled: 1-line block ×4, first 2 shown]
	s_delay_alu instid0(VALU_DEP_4) | instskip(SKIP_1) | instid1(VALU_DEP_4)
	v_fma_f64 v[17:18], v[35:36], s[16:17], v[2:3]
	v_add_f64_e64 v[2:3], v[70:71], -v[64:65]
	v_fma_f64 v[19:20], v[0:1], s[16:17], v[19:20]
	s_delay_alu instid0(VALU_DEP_4) | instskip(SKIP_3) | instid1(VALU_DEP_3)
	v_fma_f64 v[45:46], v[0:1], s[16:17], v[6:7]
	v_add_f64_e64 v[0:1], v[72:73], -v[74:75]
	v_fma_f64 v[43:44], v[35:36], s[16:17], v[4:5]
	v_add_f64_e32 v[4:5], v[74:75], v[64:65]
	v_add_f64_e32 v[33:34], v[0:1], v[2:3]
	v_add_f64_e64 v[0:1], v[94:95], -v[76:77]
	v_add_f64_e64 v[2:3], v[87:88], -v[68:69]
	s_delay_alu instid0(VALU_DEP_1) | instskip(SKIP_4) | instid1(VALU_DEP_1)
	v_add_f64_e32 v[35:36], v[0:1], v[2:3]
	ds_load_b128 v[0:3], v8 offset:8000
	s_wait_dscnt 0x0
	v_fma_f64 v[37:38], v[4:5], -0.5, v[0:1]
	v_add_f64_e32 v[4:5], v[76:77], v[68:69]
	v_fma_f64 v[39:40], v[4:5], -0.5, v[2:3]
	s_delay_alu instid0(VALU_DEP_3) | instskip(SKIP_1) | instid1(VALU_DEP_3)
	v_fma_f64 v[4:5], v[47:48], s[20:21], v[37:38]
	v_fma_f64 v[37:38], v[47:48], s[18:19], v[37:38]
	;; [unrolled: 1-line block ×4, first 2 shown]
	s_delay_alu instid0(VALU_DEP_4) | instskip(NEXT) | instid1(VALU_DEP_4)
	v_fma_f64 v[4:5], v[49:50], s[12:13], v[4:5]
	v_fma_f64 v[37:38], v[49:50], s[14:15], v[37:38]
	s_delay_alu instid0(VALU_DEP_4) | instskip(NEXT) | instid1(VALU_DEP_4)
	v_fma_f64 v[6:7], v[53:54], s[14:15], v[6:7]
	v_fma_f64 v[41:42], v[53:54], s[12:13], v[39:40]
	;; [unrolled: 3-line block ×3, first 2 shown]
	v_add_f64_e32 v[33:34], v[72:73], v[70:71]
	v_add_f64_e64 v[37:38], v[74:75], -v[72:73]
	v_fma_f64 v[6:7], v[35:36], s[16:17], v[6:7]
	v_fma_f64 v[41:42], v[35:36], s[16:17], v[41:42]
	v_add_f64_e32 v[35:36], v[94:95], v[87:88]
	v_fma_f64 v[33:34], v[33:34], -0.5, v[0:1]
	v_add_f64_e32 v[0:1], v[0:1], v[74:75]
	s_delay_alu instid0(VALU_DEP_3) | instskip(SKIP_1) | instid1(VALU_DEP_3)
	v_fma_f64 v[35:36], v[35:36], -0.5, v[2:3]
	v_add_f64_e32 v[2:3], v[2:3], v[76:77]
	v_add_f64_e32 v[0:1], v[0:1], v[72:73]
	s_delay_alu instid0(VALU_DEP_2) | instskip(NEXT) | instid1(VALU_DEP_2)
	v_add_f64_e32 v[2:3], v[2:3], v[94:95]
	v_add_f64_e32 v[0:1], v[0:1], v[70:71]
	v_add_f64_e64 v[70:71], v[64:65], -v[70:71]
	s_delay_alu instid0(VALU_DEP_3) | instskip(NEXT) | instid1(VALU_DEP_3)
	v_add_f64_e32 v[2:3], v[2:3], v[87:88]
	v_add_f64_e32 v[0:1], v[0:1], v[64:65]
	v_add_f64_e64 v[64:65], v[68:69], -v[87:88]
	s_delay_alu instid0(VALU_DEP_4) | instskip(NEXT) | instid1(VALU_DEP_4)
	v_add_f64_e32 v[37:38], v[37:38], v[70:71]
	v_add_f64_e32 v[2:3], v[2:3], v[68:69]
	v_fma_f64 v[68:69], v[49:50], s[18:19], v[33:34]
	v_fma_f64 v[33:34], v[49:50], s[20:21], v[33:34]
	;; [unrolled: 1-line block ×4, first 2 shown]
	v_add_f64_e32 v[53:54], v[66:67], v[64:65]
	v_fma_f64 v[64:65], v[47:48], s[12:13], v[68:69]
	v_fma_f64 v[47:48], v[47:48], s[14:15], v[33:34]
	;; [unrolled: 1-line block ×4, first 2 shown]
	s_delay_alu instid0(VALU_DEP_4) | instskip(NEXT) | instid1(VALU_DEP_4)
	v_fma_f64 v[33:34], v[37:38], s[16:17], v[64:65]
	v_fma_f64 v[47:48], v[37:38], s[16:17], v[47:48]
	s_delay_alu instid0(VALU_DEP_4) | instskip(NEXT) | instid1(VALU_DEP_4)
	v_fma_f64 v[35:36], v[53:54], s[16:17], v[49:50]
	v_fma_f64 v[49:50], v[53:54], s[16:17], v[51:52]
	ds_store_b128 v8, v[89:92]
	ds_store_b128 v8, v[136:139] offset:2000
	ds_store_b128 v8, v[164:167] offset:4000
	;; [unrolled: 1-line block ×24, first 2 shown]
	global_wb scope:SCOPE_SE
	s_wait_storecnt_dscnt 0x0
	s_barrier_signal -1
	s_barrier_wait -1
	global_inv scope:SCOPE_SE
	global_load_b128 v[4:7], v8, s[8:9] offset:50000
	ds_load_b128 v[0:3], v8
	s_add_nc_u64 s[8:9], s[8:9], 0xc350
	ds_load_b128 v[136:139], v8 offset:38000
	ds_load_b128 v[148:151], v8 offset:48000
	s_wait_loadcnt_dscnt 0x2
	v_mul_f64_e32 v[9:10], v[2:3], v[6:7]
	v_mul_f64_e32 v[6:7], v[0:1], v[6:7]
	s_delay_alu instid0(VALU_DEP_2) | instskip(NEXT) | instid1(VALU_DEP_2)
	v_fma_f64 v[0:1], v[0:1], v[4:5], -v[9:10]
	v_fma_f64 v[2:3], v[2:3], v[4:5], v[6:7]
	global_load_b128 v[4:7], v8, s[8:9] offset:10000
	ds_load_b128 v[9:12], v8 offset:10000
	s_wait_loadcnt_dscnt 0x0
	v_mul_f64_e32 v[13:14], v[11:12], v[6:7]
	v_mul_f64_e32 v[6:7], v[9:10], v[6:7]
	s_delay_alu instid0(VALU_DEP_2) | instskip(NEXT) | instid1(VALU_DEP_2)
	v_fma_f64 v[9:10], v[9:10], v[4:5], -v[13:14]
	v_fma_f64 v[11:12], v[11:12], v[4:5], v[6:7]
	global_load_b128 v[4:7], v8, s[8:9] offset:20000
	;; [unrolled: 8-line block ×23, first 2 shown]
	s_wait_loadcnt 0x0
	v_mul_f64_e32 v[99:100], v[138:139], v[6:7]
	v_mul_f64_e32 v[6:7], v[136:137], v[6:7]
	s_delay_alu instid0(VALU_DEP_2) | instskip(NEXT) | instid1(VALU_DEP_2)
	v_fma_f64 v[136:137], v[136:137], v[4:5], -v[99:100]
	v_fma_f64 v[138:139], v[138:139], v[4:5], v[6:7]
	global_load_b128 v[4:7], v8, s[8:9] offset:48000
	s_mov_b32 s8, 0x88e368f1
	s_mov_b32 s9, 0x3f34f8b5
	s_wait_loadcnt 0x0
	v_mul_f64_e32 v[99:100], v[150:151], v[6:7]
	v_mul_f64_e32 v[6:7], v[148:149], v[6:7]
	s_delay_alu instid0(VALU_DEP_2) | instskip(NEXT) | instid1(VALU_DEP_2)
	v_fma_f64 v[148:149], v[148:149], v[4:5], -v[99:100]
	v_fma_f64 v[150:151], v[150:151], v[4:5], v[6:7]
	ds_store_b128 v8, v[0:3]
	ds_store_b128 v8, v[9:12] offset:10000
	ds_store_b128 v8, v[13:16] offset:20000
	;; [unrolled: 1-line block ×24, first 2 shown]
	global_wb scope:SCOPE_SE
	s_wait_dscnt 0x0
	s_barrier_signal -1
	s_barrier_wait -1
	global_inv scope:SCOPE_SE
	ds_load_b128 v[4:7], v8 offset:10000
	ds_load_b128 v[87:90], v8
	ds_load_b128 v[9:12], v8 offset:20000
	s_wait_dscnt 0x1
	v_add_f64_e32 v[13:14], v[87:88], v[4:5]
	s_wait_dscnt 0x0
	v_add_f64_e64 v[214:215], v[4:5], -v[9:10]
	v_add_f64_e64 v[200:201], v[9:10], -v[4:5]
	;; [unrolled: 1-line block ×4, first 2 shown]
	v_add_f64_e32 v[17:18], v[13:14], v[9:10]
	v_add_f64_e32 v[13:14], v[89:90], v[6:7]
	s_delay_alu instid0(VALU_DEP_1)
	v_add_f64_e32 v[19:20], v[13:14], v[11:12]
	ds_load_b128 v[13:16], v8 offset:30000
	s_wait_dscnt 0x0
	v_add_f64_e32 v[196:197], v[9:10], v[13:14]
	v_add_f64_e64 v[51:52], v[11:12], -v[15:16]
	v_add_f64_e32 v[192:193], v[11:12], v[15:16]
	v_add_f64_e64 v[59:60], v[9:10], -v[13:14]
	ds_load_b128 v[9:12], v8 offset:40000
	s_wait_dscnt 0x0
	v_add_f64_e64 v[65:66], v[6:7], -v[11:12]
	v_add_f64_e32 v[129:130], v[4:5], v[9:10]
	v_add_f64_e64 v[69:70], v[4:5], -v[9:10]
	v_add_f64_e32 v[152:153], v[6:7], v[11:12]
	v_add_f64_e32 v[4:5], v[17:18], v[13:14]
	;; [unrolled: 1-line block ×3, first 2 shown]
	v_add_f64_e64 v[184:185], v[9:10], -v[13:14]
	v_add_f64_e64 v[2:3], v[13:14], -v[9:10]
	;; [unrolled: 1-line block ×4, first 2 shown]
	v_add_f64_e32 v[4:5], v[4:5], v[9:10]
	v_add_f64_e32 v[6:7], v[6:7], v[11:12]
	ds_load_b128 v[9:12], v8 offset:2000
	ds_load_b128 v[13:16], v8 offset:12000
	;; [unrolled: 1-line block ×3, first 2 shown]
	v_add_f64_e32 v[49:50], v[172:173], v[49:50]
	s_wait_dscnt 0x1
	v_add_f64_e32 v[21:22], v[9:10], v[13:14]
	s_wait_dscnt 0x0
	v_add_f64_e64 v[188:189], v[13:14], -v[17:18]
	v_add_f64_e64 v[168:169], v[17:18], -v[13:14]
	;; [unrolled: 1-line block ×4, first 2 shown]
	v_add_f64_e32 v[25:26], v[21:22], v[17:18]
	v_add_f64_e32 v[21:22], v[11:12], v[15:16]
	s_delay_alu instid0(VALU_DEP_1)
	v_add_f64_e32 v[27:28], v[21:22], v[19:20]
	ds_load_b128 v[21:24], v8 offset:32000
	s_wait_dscnt 0x0
	v_add_f64_e32 v[156:157], v[17:18], v[21:22]
	v_add_f64_e64 v[83:84], v[19:20], -v[23:24]
	v_add_f64_e32 v[127:128], v[19:20], v[23:24]
	v_add_f64_e64 v[93:94], v[17:18], -v[21:22]
	ds_load_b128 v[17:20], v8 offset:42000
	s_wait_dscnt 0x0
	v_add_f64_e64 v[99:100], v[15:16], -v[19:20]
	v_add_f64_e32 v[105:106], v[13:14], v[17:18]
	v_add_f64_e64 v[103:104], v[13:14], -v[17:18]
	v_add_f64_e32 v[107:108], v[15:16], v[19:20]
	v_add_f64_e32 v[13:14], v[25:26], v[21:22]
	;; [unrolled: 1-line block ×3, first 2 shown]
	v_add_f64_e64 v[121:122], v[17:18], -v[21:22]
	v_add_f64_e64 v[109:110], v[21:22], -v[17:18]
	v_add_f64_e64 v[119:120], v[19:20], -v[23:24]
	v_add_f64_e64 v[113:114], v[23:24], -v[19:20]
	v_add_f64_e32 v[61:62], v[13:14], v[17:18]
	v_add_f64_e32 v[63:64], v[15:16], v[19:20]
	ds_load_b128 v[17:20], v8 offset:14000
	ds_load_b128 v[21:24], v8 offset:4000
	;; [unrolled: 1-line block ×3, first 2 shown]
	s_wait_dscnt 0x1
	v_add_f64_e32 v[29:30], v[21:22], v[17:18]
	s_wait_dscnt 0x0
	v_add_f64_e64 v[136:137], v[17:18], -v[25:26]
	v_add_f64_e64 v[138:139], v[25:26], -v[17:18]
	;; [unrolled: 1-line block ×4, first 2 shown]
	v_add_f64_e32 v[33:34], v[29:30], v[25:26]
	v_add_f64_e32 v[29:30], v[23:24], v[19:20]
	s_delay_alu instid0(VALU_DEP_1)
	v_add_f64_e32 v[35:36], v[29:30], v[27:28]
	ds_load_b128 v[29:32], v8 offset:34000
	s_wait_dscnt 0x0
	v_add_f64_e32 v[115:116], v[25:26], v[29:30]
	v_add_f64_e64 v[117:118], v[27:28], -v[31:32]
	v_add_f64_e32 v[148:149], v[27:28], v[31:32]
	v_add_f64_e64 v[150:151], v[25:26], -v[29:30]
	ds_load_b128 v[25:28], v8 offset:44000
	s_wait_dscnt 0x0
	v_add_f64_e64 v[164:165], v[19:20], -v[27:28]
	v_add_f64_e32 v[166:167], v[17:18], v[25:26]
	v_add_f64_e64 v[13:14], v[17:18], -v[25:26]
	v_add_f64_e32 v[131:132], v[19:20], v[27:28]
	v_add_f64_e32 v[17:18], v[33:34], v[29:30]
	;; [unrolled: 1-line block ×3, first 2 shown]
	v_add_f64_e64 v[125:126], v[25:26], -v[29:30]
	v_add_f64_e64 v[97:98], v[29:30], -v[25:26]
	;; [unrolled: 1-line block ×4, first 2 shown]
	v_add_f64_e32 v[140:141], v[17:18], v[25:26]
	v_add_f64_e32 v[142:143], v[19:20], v[27:28]
	ds_load_b128 v[25:28], v8 offset:6000
	ds_load_b128 v[29:32], v8 offset:16000
	;; [unrolled: 1-line block ×3, first 2 shown]
	v_add_f64_e32 v[15:16], v[162:163], v[15:16]
	s_wait_dscnt 0x1
	v_add_f64_e32 v[37:38], v[25:26], v[29:30]
	s_wait_dscnt 0x0
	v_add_f64_e64 v[101:102], v[29:30], -v[33:34]
	v_add_f64_e64 v[95:96], v[33:34], -v[29:30]
	;; [unrolled: 1-line block ×4, first 2 shown]
	v_add_f64_e32 v[41:42], v[37:38], v[33:34]
	v_add_f64_e32 v[37:38], v[27:28], v[31:32]
	s_delay_alu instid0(VALU_DEP_1)
	v_add_f64_e32 v[43:44], v[37:38], v[35:36]
	ds_load_b128 v[37:40], v8 offset:36000
	s_wait_dscnt 0x0
	v_add_f64_e32 v[133:134], v[33:34], v[37:38]
	v_add_f64_e64 v[55:56], v[35:36], -v[39:40]
	v_add_f64_e32 v[146:147], v[35:36], v[39:40]
	v_add_f64_e64 v[53:54], v[33:34], -v[37:38]
	ds_load_b128 v[33:36], v8 offset:46000
	s_wait_dscnt 0x0
	v_add_f64_e64 v[154:155], v[31:32], -v[35:36]
	v_add_f64_e32 v[81:82], v[29:30], v[33:34]
	v_add_f64_e64 v[158:159], v[29:30], -v[33:34]
	v_add_f64_e32 v[85:86], v[31:32], v[35:36]
	v_add_f64_e32 v[29:30], v[41:42], v[37:38]
	;; [unrolled: 1-line block ×3, first 2 shown]
	v_add_f64_e64 v[170:171], v[33:34], -v[37:38]
	v_add_f64_e64 v[79:80], v[37:38], -v[33:34]
	;; [unrolled: 1-line block ×4, first 2 shown]
	v_add_f64_e32 v[29:30], v[29:30], v[33:34]
	v_add_f64_e32 v[31:32], v[31:32], v[35:36]
	ds_load_b128 v[33:36], v8 offset:8000
	ds_load_b128 v[37:40], v8 offset:18000
	;; [unrolled: 1-line block ×3, first 2 shown]
	s_wait_dscnt 0x1
	v_add_f64_e32 v[45:46], v[33:34], v[37:38]
	s_wait_dscnt 0x0
	v_add_f64_e64 v[186:187], v[37:38], -v[41:42]
	v_add_f64_e64 v[75:76], v[41:42], -v[37:38]
	;; [unrolled: 1-line block ×4, first 2 shown]
	v_add_f64_e32 v[178:179], v[45:46], v[41:42]
	v_add_f64_e32 v[45:46], v[35:36], v[39:40]
	s_delay_alu instid0(VALU_DEP_1)
	v_add_f64_e32 v[0:1], v[45:46], v[43:44]
	ds_load_b128 v[45:48], v8 offset:38000
	s_wait_dscnt 0x0
	v_add_f64_e32 v[182:183], v[41:42], v[45:46]
	v_add_f64_e64 v[19:20], v[43:44], -v[47:48]
	v_add_f64_e32 v[190:191], v[43:44], v[47:48]
	v_add_f64_e64 v[17:18], v[41:42], -v[45:46]
	ds_load_b128 v[41:44], v8 offset:48000
	global_wb scope:SCOPE_SE
	s_wait_dscnt 0x0
	s_barrier_signal -1
	s_barrier_wait -1
	global_inv scope:SCOPE_SE
	v_add_f64_e32 v[0:1], v[0:1], v[47:48]
	v_add_f64_e64 v[198:199], v[39:40], -v[43:44]
	v_add_f64_e32 v[57:58], v[37:38], v[41:42]
	v_add_f64_e64 v[202:203], v[37:38], -v[41:42]
	v_add_f64_e32 v[67:68], v[39:40], v[43:44]
	v_add_f64_e32 v[37:38], v[178:179], v[45:46]
	v_add_f64_e64 v[73:74], v[43:44], -v[47:48]
	v_add_f64_e64 v[216:217], v[47:48], -v[43:44]
	;; [unrolled: 1-line block ×4, first 2 shown]
	v_fma_f64 v[45:46], v[196:197], -0.5, v[87:88]
	v_fma_f64 v[47:48], v[192:193], -0.5, v[89:90]
	v_add_f64_e32 v[39:40], v[0:1], v[43:44]
	v_fma_f64 v[43:44], v[152:153], -0.5, v[89:90]
	v_add_f64_e32 v[37:38], v[37:38], v[41:42]
	;; [unrolled: 2-line block ×3, first 2 shown]
	s_delay_alu instid0(VALU_DEP_4) | instskip(SKIP_1) | instid1(VALU_DEP_4)
	v_fma_f64 v[2:3], v[59:60], s[20:21], v[43:44]
	v_fma_f64 v[43:44], v[59:60], s[18:19], v[43:44]
	;; [unrolled: 1-line block ×4, first 2 shown]
	s_delay_alu instid0(VALU_DEP_4) | instskip(NEXT) | instid1(VALU_DEP_4)
	v_fma_f64 v[2:3], v[69:70], s[12:13], v[2:3]
	v_fma_f64 v[43:44], v[69:70], s[14:15], v[43:44]
	s_delay_alu instid0(VALU_DEP_4) | instskip(NEXT) | instid1(VALU_DEP_4)
	v_fma_f64 v[0:1], v[65:66], s[14:15], v[0:1]
	v_fma_f64 v[41:42], v[65:66], s[12:13], v[41:42]
	;; [unrolled: 3-line block ×3, first 2 shown]
	v_fma_f64 v[49:50], v[65:66], s[20:21], v[45:46]
	v_fma_f64 v[45:46], v[65:66], s[18:19], v[45:46]
	;; [unrolled: 1-line block ×4, first 2 shown]
	v_add_f64_e32 v[69:70], v[214:215], v[184:185]
	v_fma_f64 v[0:1], v[87:88], s[16:17], v[0:1]
	v_fma_f64 v[41:42], v[87:88], s[16:17], v[41:42]
	v_add_f64_e32 v[87:88], v[212:213], v[180:181]
	v_fma_f64 v[49:50], v[51:52], s[14:15], v[49:50]
	v_fma_f64 v[51:52], v[51:52], s[12:13], v[45:46]
	;; [unrolled: 1-line block ×4, first 2 shown]
	s_delay_alu instid0(VALU_DEP_4) | instskip(NEXT) | instid1(VALU_DEP_4)
	v_fma_f64 v[45:46], v[69:70], s[16:17], v[49:50]
	v_fma_f64 v[49:50], v[69:70], s[16:17], v[51:52]
	s_delay_alu instid0(VALU_DEP_4) | instskip(NEXT) | instid1(VALU_DEP_4)
	v_fma_f64 v[47:48], v[87:88], s[16:17], v[65:66]
	v_fma_f64 v[51:52], v[87:88], s[16:17], v[59:60]
	scratch_load_b32 v59, off, off offset:1056 th:TH_LOAD_LU ; 4-byte Folded Reload
	s_wait_loadcnt 0x0
	ds_store_b128 v59, v[4:7]
	ds_store_b128 v59, v[45:48] offset:16
	ds_store_b128 v59, v[0:3] offset:32
	;; [unrolled: 1-line block ×4, first 2 shown]
	v_fma_f64 v[4:5], v[105:106], -0.5, v[9:10]
	v_fma_f64 v[6:7], v[107:108], -0.5, v[11:12]
	;; [unrolled: 1-line block ×4, first 2 shown]
	v_add_f64_e32 v[11:12], v[168:169], v[109:110]
	v_add_f64_e32 v[43:44], v[111:112], v[113:114]
	;; [unrolled: 1-line block ×4, first 2 shown]
	v_fma_f64 v[0:1], v[83:84], s[18:19], v[4:5]
	v_fma_f64 v[4:5], v[83:84], s[20:21], v[4:5]
	;; [unrolled: 1-line block ×4, first 2 shown]
	s_delay_alu instid0(VALU_DEP_4) | instskip(NEXT) | instid1(VALU_DEP_4)
	v_fma_f64 v[0:1], v[99:100], s[14:15], v[0:1]
	v_fma_f64 v[4:5], v[99:100], s[12:13], v[4:5]
	s_delay_alu instid0(VALU_DEP_4) | instskip(NEXT) | instid1(VALU_DEP_4)
	v_fma_f64 v[2:3], v[103:104], s[12:13], v[2:3]
	v_fma_f64 v[6:7], v[103:104], s[14:15], v[6:7]
	;; [unrolled: 3-line block ×3, first 2 shown]
	v_fma_f64 v[11:12], v[99:100], s[20:21], v[9:10]
	v_fma_f64 v[9:10], v[99:100], s[18:19], v[9:10]
	;; [unrolled: 1-line block ×8, first 2 shown]
	s_delay_alu instid0(VALU_DEP_4) | instskip(NEXT) | instid1(VALU_DEP_4)
	v_fma_f64 v[43:44], v[93:94], s[12:13], v[43:44]
	v_fma_f64 v[51:52], v[93:94], s[14:15], v[41:42]
	s_delay_alu instid0(VALU_DEP_4) | instskip(NEXT) | instid1(VALU_DEP_4)
	v_fma_f64 v[9:10], v[45:46], s[16:17], v[11:12]
	v_fma_f64 v[41:42], v[45:46], s[16:17], v[49:50]
	scratch_load_b32 v45, off, off offset:984 th:TH_LOAD_LU ; 4-byte Folded Reload
	v_fma_f64 v[11:12], v[47:48], s[16:17], v[43:44]
	v_fma_f64 v[43:44], v[47:48], s[16:17], v[51:52]
	s_wait_loadcnt 0x0
	ds_store_b128 v45, v[61:64]
	ds_store_b128 v45, v[9:12] offset:16
	ds_store_b128 v45, v[0:3] offset:32
	;; [unrolled: 1-line block ×4, first 2 shown]
	v_fma_f64 v[4:5], v[166:167], -0.5, v[21:22]
	v_fma_f64 v[9:10], v[115:116], -0.5, v[21:22]
	;; [unrolled: 1-line block ×3, first 2 shown]
	v_add_f64_e32 v[21:22], v[138:139], v[97:98]
	v_fma_f64 v[6:7], v[131:132], -0.5, v[23:24]
	v_add_f64_e32 v[23:24], v[160:161], v[123:124]
	v_fma_f64 v[0:1], v[117:118], s[18:19], v[4:5]
	v_fma_f64 v[4:5], v[117:118], s[20:21], v[4:5]
	s_delay_alu instid0(VALU_DEP_4) | instskip(SKIP_1) | instid1(VALU_DEP_4)
	v_fma_f64 v[2:3], v[150:151], s[20:21], v[6:7]
	v_fma_f64 v[6:7], v[150:151], s[18:19], v[6:7]
	;; [unrolled: 1-line block ×3, first 2 shown]
	s_delay_alu instid0(VALU_DEP_4) | instskip(NEXT) | instid1(VALU_DEP_4)
	v_fma_f64 v[4:5], v[164:165], s[12:13], v[4:5]
	v_fma_f64 v[2:3], v[13:14], s[12:13], v[2:3]
	s_delay_alu instid0(VALU_DEP_4) | instskip(NEXT) | instid1(VALU_DEP_4)
	v_fma_f64 v[6:7], v[13:14], s[14:15], v[6:7]
	v_fma_f64 v[0:1], v[21:22], s[16:17], v[0:1]
	s_delay_alu instid0(VALU_DEP_4)
	v_fma_f64 v[4:5], v[21:22], s[16:17], v[4:5]
	v_fma_f64 v[21:22], v[13:14], s[18:19], v[11:12]
	;; [unrolled: 1-line block ×7, first 2 shown]
	v_add_f64_e32 v[13:14], v[136:137], v[125:126]
	v_fma_f64 v[21:22], v[150:151], s[12:13], v[21:22]
	v_fma_f64 v[43:44], v[150:151], s[14:15], v[11:12]
	;; [unrolled: 1-line block ×4, first 2 shown]
	s_delay_alu instid0(VALU_DEP_4)
	v_fma_f64 v[11:12], v[23:24], s[16:17], v[21:22]
	scratch_load_b32 v21, off, off offset:916 th:TH_LOAD_LU ; 4-byte Folded Reload
	v_fma_f64 v[9:10], v[13:14], s[16:17], v[15:16]
	v_fma_f64 v[13:14], v[13:14], s[16:17], v[41:42]
	;; [unrolled: 1-line block ×3, first 2 shown]
	s_wait_loadcnt 0x0
	ds_store_b128 v21, v[140:143]
	ds_store_b128 v21, v[9:12] offset:16
	ds_store_b128 v21, v[0:3] offset:32
	;; [unrolled: 1-line block ×4, first 2 shown]
	v_fma_f64 v[4:5], v[81:82], -0.5, v[25:26]
	v_fma_f64 v[9:10], v[133:134], -0.5, v[25:26]
	v_add_f64_e32 v[13:14], v[95:96], v[79:80]
	v_add_f64_e32 v[21:22], v[101:102], v[170:171]
	v_fma_f64 v[6:7], v[85:86], -0.5, v[27:28]
	v_fma_f64 v[11:12], v[146:147], -0.5, v[27:28]
	v_add_f64_e32 v[15:16], v[91:92], v[77:78]
	v_add_f64_e32 v[23:24], v[144:145], v[174:175]
	v_fma_f64 v[0:1], v[55:56], s[18:19], v[4:5]
	v_fma_f64 v[4:5], v[55:56], s[20:21], v[4:5]
	;; [unrolled: 1-line block ×4, first 2 shown]
	s_delay_alu instid0(VALU_DEP_4) | instskip(NEXT) | instid1(VALU_DEP_4)
	v_fma_f64 v[0:1], v[154:155], s[14:15], v[0:1]
	v_fma_f64 v[4:5], v[154:155], s[12:13], v[4:5]
	s_delay_alu instid0(VALU_DEP_4) | instskip(NEXT) | instid1(VALU_DEP_4)
	v_fma_f64 v[2:3], v[158:159], s[12:13], v[2:3]
	v_fma_f64 v[6:7], v[158:159], s[14:15], v[6:7]
	;; [unrolled: 3-line block ×3, first 2 shown]
	v_fma_f64 v[13:14], v[154:155], s[20:21], v[9:10]
	v_fma_f64 v[9:10], v[154:155], s[18:19], v[9:10]
	;; [unrolled: 1-line block ×8, first 2 shown]
	s_delay_alu instid0(VALU_DEP_4) | instskip(NEXT) | instid1(VALU_DEP_4)
	v_fma_f64 v[15:16], v[53:54], s[12:13], v[15:16]
	v_fma_f64 v[27:28], v[53:54], s[14:15], v[11:12]
	s_delay_alu instid0(VALU_DEP_4) | instskip(NEXT) | instid1(VALU_DEP_4)
	v_fma_f64 v[9:10], v[21:22], s[16:17], v[13:14]
	v_fma_f64 v[13:14], v[21:22], s[16:17], v[25:26]
	scratch_load_b32 v21, off, off offset:784 th:TH_LOAD_LU ; 4-byte Folded Reload
	v_fma_f64 v[11:12], v[23:24], s[16:17], v[15:16]
	v_fma_f64 v[15:16], v[23:24], s[16:17], v[27:28]
	s_wait_loadcnt 0x0
	ds_store_b128 v21, v[29:32]
	ds_store_b128 v21, v[9:12] offset:16
	ds_store_b128 v21, v[0:3] offset:32
	;; [unrolled: 1-line block ×4, first 2 shown]
	v_fma_f64 v[6:7], v[67:68], -0.5, v[35:36]
	v_fma_f64 v[11:12], v[190:191], -0.5, v[35:36]
	v_add_f64_e32 v[15:16], v[71:72], v[216:217]
	v_add_f64_e32 v[23:24], v[194:195], v[73:74]
	v_fma_f64 v[4:5], v[57:58], -0.5, v[33:34]
	v_fma_f64 v[9:10], v[182:183], -0.5, v[33:34]
	v_add_f64_e32 v[13:14], v[75:76], v[218:219]
	v_add_f64_e32 v[21:22], v[186:187], v[178:179]
	v_fma_f64 v[2:3], v[17:18], s[20:21], v[6:7]
	v_fma_f64 v[6:7], v[17:18], s[18:19], v[6:7]
	;; [unrolled: 1-line block ×4, first 2 shown]
	s_delay_alu instid0(VALU_DEP_4) | instskip(NEXT) | instid1(VALU_DEP_4)
	v_fma_f64 v[2:3], v[202:203], s[12:13], v[2:3]
	v_fma_f64 v[6:7], v[202:203], s[14:15], v[6:7]
	s_delay_alu instid0(VALU_DEP_4) | instskip(NEXT) | instid1(VALU_DEP_4)
	v_fma_f64 v[0:1], v[198:199], s[14:15], v[0:1]
	v_fma_f64 v[4:5], v[198:199], s[12:13], v[4:5]
	;; [unrolled: 3-line block ×3, first 2 shown]
	v_fma_f64 v[15:16], v[202:203], s[18:19], v[11:12]
	v_fma_f64 v[11:12], v[202:203], s[20:21], v[11:12]
	;; [unrolled: 1-line block ×8, first 2 shown]
	s_delay_alu instid0(VALU_DEP_4) | instskip(NEXT) | instid1(VALU_DEP_4)
	v_fma_f64 v[13:14], v[19:20], s[14:15], v[13:14]
	v_fma_f64 v[19:20], v[19:20], s[12:13], v[9:10]
	s_delay_alu instid0(VALU_DEP_4) | instskip(NEXT) | instid1(VALU_DEP_4)
	v_fma_f64 v[11:12], v[23:24], s[16:17], v[15:16]
	v_fma_f64 v[15:16], v[23:24], s[16:17], v[17:18]
	scratch_load_b32 v17, off, off offset:716 th:TH_LOAD_LU ; 4-byte Folded Reload
	v_fma_f64 v[9:10], v[21:22], s[16:17], v[13:14]
	v_fma_f64 v[13:14], v[21:22], s[16:17], v[19:20]
	s_wait_loadcnt 0x0
	ds_store_b128 v17, v[37:40]
	ds_store_b128 v17, v[9:12] offset:16
	ds_store_b128 v17, v[0:3] offset:32
	;; [unrolled: 1-line block ×4, first 2 shown]
	global_wb scope:SCOPE_SE
	s_wait_dscnt 0x0
	s_barrier_signal -1
	s_barrier_wait -1
	global_inv scope:SCOPE_SE
	s_clause 0x1
	scratch_load_b128 v[9:12], off, off offset:524 th:TH_LOAD_LU
	scratch_load_b128 v[20:23], off, off offset:684 th:TH_LOAD_LU
	ds_load_b128 v[0:3], v8 offset:10000
	scratch_load_b128 v[32:35], off, off offset:700 th:TH_LOAD_LU ; 16-byte Folded Reload
	s_wait_loadcnt_dscnt 0x200
	v_mul_f64_e32 v[4:5], v[11:12], v[2:3]
	s_delay_alu instid0(VALU_DEP_1)
	v_fma_f64 v[4:5], v[9:10], v[0:1], v[4:5]
	v_mul_f64_e32 v[0:1], v[11:12], v[0:1]
	scratch_load_b128 v[11:14], off, off offset:540 th:TH_LOAD_LU ; 16-byte Folded Reload
	v_fma_f64 v[6:7], v[9:10], v[2:3], -v[0:1]
	ds_load_b128 v[0:3], v8 offset:20000
	s_wait_loadcnt_dscnt 0x0
	v_mul_f64_e32 v[9:10], v[13:14], v[2:3]
	s_delay_alu instid0(VALU_DEP_1) | instskip(SKIP_1) | instid1(VALU_DEP_1)
	v_fma_f64 v[40:41], v[11:12], v[0:1], v[9:10]
	v_mul_f64_e32 v[0:1], v[13:14], v[0:1]
	v_fma_f64 v[42:43], v[11:12], v[2:3], -v[0:1]
	scratch_load_b128 v[11:14], off, off offset:556 th:TH_LOAD_LU ; 16-byte Folded Reload
	ds_load_b128 v[0:3], v8 offset:30000
	s_wait_loadcnt_dscnt 0x0
	v_mul_f64_e32 v[9:10], v[13:14], v[2:3]
	s_delay_alu instid0(VALU_DEP_1) | instskip(SKIP_1) | instid1(VALU_DEP_2)
	v_fma_f64 v[44:45], v[11:12], v[0:1], v[9:10]
	v_mul_f64_e32 v[0:1], v[13:14], v[0:1]
	v_add_f64_e64 v[66:67], v[40:41], -v[44:45]
	s_delay_alu instid0(VALU_DEP_2)
	v_fma_f64 v[46:47], v[11:12], v[2:3], -v[0:1]
	scratch_load_b128 v[11:14], off, off offset:572 th:TH_LOAD_LU ; 16-byte Folded Reload
	ds_load_b128 v[0:3], v8 offset:40000
	v_add_f64_e64 v[62:63], v[42:43], -v[46:47]
	s_wait_loadcnt_dscnt 0x0
	v_mul_f64_e32 v[9:10], v[13:14], v[2:3]
	s_delay_alu instid0(VALU_DEP_1) | instskip(SKIP_1) | instid1(VALU_DEP_2)
	v_fma_f64 v[48:49], v[11:12], v[0:1], v[9:10]
	v_mul_f64_e32 v[0:1], v[13:14], v[0:1]
	v_add_f64_e64 v[70:71], v[4:5], -v[48:49]
	s_delay_alu instid0(VALU_DEP_2)
	v_fma_f64 v[56:57], v[11:12], v[2:3], -v[0:1]
	scratch_load_b128 v[11:14], off, off offset:588 th:TH_LOAD_LU ; 16-byte Folded Reload
	ds_load_b128 v[0:3], v8 offset:12000
	v_add_f64_e64 v[64:65], v[6:7], -v[56:57]
	s_wait_loadcnt_dscnt 0x0
	v_mul_f64_e32 v[9:10], v[13:14], v[2:3]
	s_delay_alu instid0(VALU_DEP_1) | instskip(SKIP_1) | instid1(VALU_DEP_1)
	v_fma_f64 v[26:27], v[11:12], v[0:1], v[9:10]
	v_mul_f64_e32 v[0:1], v[13:14], v[0:1]
	v_fma_f64 v[24:25], v[11:12], v[2:3], -v[0:1]
	scratch_load_b128 v[11:14], off, off offset:604 th:TH_LOAD_LU ; 16-byte Folded Reload
	ds_load_b128 v[0:3], v8 offset:22000
	s_wait_loadcnt_dscnt 0x0
	v_mul_f64_e32 v[9:10], v[13:14], v[2:3]
	s_delay_alu instid0(VALU_DEP_1) | instskip(SKIP_1) | instid1(VALU_DEP_1)
	v_fma_f64 v[50:51], v[11:12], v[0:1], v[9:10]
	v_mul_f64_e32 v[0:1], v[13:14], v[0:1]
	v_fma_f64 v[52:53], v[11:12], v[2:3], -v[0:1]
	scratch_load_b128 v[11:14], off, off offset:620 th:TH_LOAD_LU ; 16-byte Folded Reload
	ds_load_b128 v[0:3], v8 offset:32000
	;; [unrolled: 8-line block ×4, first 2 shown]
	s_wait_loadcnt_dscnt 0x0
	v_mul_f64_e32 v[9:10], v[14:15], v[2:3]
	s_delay_alu instid0(VALU_DEP_1)
	v_fma_f64 v[10:11], v[12:13], v[0:1], v[9:10]
	v_mul_f64_e32 v[0:1], v[14:15], v[0:1]
	scratch_load_b128 v[14:17], off, off offset:668 th:TH_LOAD_LU ; 16-byte Folded Reload
	v_fma_f64 v[30:31], v[12:13], v[2:3], -v[0:1]
	ds_load_b128 v[0:3], v8 offset:24000
	s_wait_loadcnt_dscnt 0x0
	v_mul_f64_e32 v[12:13], v[16:17], v[2:3]
	s_delay_alu instid0(VALU_DEP_1) | instskip(SKIP_1) | instid1(VALU_DEP_1)
	v_fma_f64 v[12:13], v[14:15], v[0:1], v[12:13]
	v_mul_f64_e32 v[0:1], v[16:17], v[0:1]
	v_fma_f64 v[14:15], v[14:15], v[2:3], -v[0:1]
	ds_load_b128 v[0:3], v8 offset:34000
	s_wait_dscnt 0x0
	v_mul_f64_e32 v[16:17], v[22:23], v[2:3]
	s_delay_alu instid0(VALU_DEP_1) | instskip(SKIP_1) | instid1(VALU_DEP_1)
	v_fma_f64 v[18:19], v[20:21], v[0:1], v[16:17]
	v_mul_f64_e32 v[0:1], v[22:23], v[0:1]
	v_fma_f64 v[16:17], v[20:21], v[2:3], -v[0:1]
	ds_load_b128 v[0:3], v8 offset:44000
	s_wait_dscnt 0x0
	v_mul_f64_e32 v[20:21], v[34:35], v[2:3]
	s_delay_alu instid0(VALU_DEP_1)
	v_fma_f64 v[20:21], v[32:33], v[0:1], v[20:21]
	v_mul_f64_e32 v[0:1], v[34:35], v[0:1]
	scratch_load_b128 v[34:37], off, off offset:720 th:TH_LOAD_LU ; 16-byte Folded Reload
	v_fma_f64 v[22:23], v[32:33], v[2:3], -v[0:1]
	ds_load_b128 v[0:3], v8 offset:16000
	s_wait_loadcnt_dscnt 0x0
	v_mul_f64_e32 v[32:33], v[36:37], v[2:3]
	s_delay_alu instid0(VALU_DEP_1) | instskip(SKIP_1) | instid1(VALU_DEP_1)
	v_fma_f64 v[174:175], v[34:35], v[0:1], v[32:33]
	v_mul_f64_e32 v[0:1], v[36:37], v[0:1]
	v_fma_f64 v[172:173], v[34:35], v[2:3], -v[0:1]
	scratch_load_b128 v[34:37], off, off offset:736 th:TH_LOAD_LU ; 16-byte Folded Reload
	ds_load_b128 v[0:3], v8 offset:26000
	s_wait_loadcnt_dscnt 0x0
	v_mul_f64_e32 v[32:33], v[36:37], v[2:3]
	s_delay_alu instid0(VALU_DEP_1) | instskip(SKIP_1) | instid1(VALU_DEP_1)
	v_fma_f64 v[178:179], v[34:35], v[0:1], v[32:33]
	v_mul_f64_e32 v[0:1], v[36:37], v[0:1]
	v_fma_f64 v[180:181], v[34:35], v[2:3], -v[0:1]
	scratch_load_b128 v[34:37], off, off offset:752 th:TH_LOAD_LU ; 16-byte Folded Reload
	;; [unrolled: 8-line block ×7, first 2 shown]
	ds_load_b128 v[0:3], v8 offset:48000
	s_wait_loadcnt_dscnt 0x0
	v_mul_f64_e32 v[32:33], v[36:37], v[2:3]
	s_delay_alu instid0(VALU_DEP_1) | instskip(SKIP_2) | instid1(VALU_DEP_2)
	v_fma_f64 v[200:201], v[34:35], v[0:1], v[32:33]
	v_mul_f64_e32 v[0:1], v[36:37], v[0:1]
	v_add_f64_e32 v[32:33], v[4:5], v[48:49]
	v_fma_f64 v[202:203], v[34:35], v[2:3], -v[0:1]
	v_add_f64_e64 v[0:1], v[40:41], -v[4:5]
	v_add_f64_e64 v[2:3], v[44:45], -v[48:49]
	s_delay_alu instid0(VALU_DEP_1) | instskip(SKIP_2) | instid1(VALU_DEP_1)
	v_add_f64_e32 v[36:37], v[0:1], v[2:3]
	v_add_f64_e64 v[0:1], v[42:43], -v[6:7]
	v_add_f64_e64 v[2:3], v[46:47], -v[56:57]
	v_add_f64_e32 v[38:39], v[0:1], v[2:3]
	ds_load_b128 v[0:3], v8
	s_wait_dscnt 0x0
	v_fma_f64 v[58:59], v[32:33], -0.5, v[0:1]
	v_add_f64_e32 v[32:33], v[6:7], v[56:57]
	s_delay_alu instid0(VALU_DEP_1) | instskip(NEXT) | instid1(VALU_DEP_3)
	v_fma_f64 v[60:61], v[32:33], -0.5, v[2:3]
	v_fma_f64 v[32:33], v[62:63], s[18:19], v[58:59]
	v_fma_f64 v[58:59], v[62:63], s[20:21], v[58:59]
	s_delay_alu instid0(VALU_DEP_3) | instskip(SKIP_1) | instid1(VALU_DEP_4)
	v_fma_f64 v[34:35], v[66:67], s[20:21], v[60:61]
	v_fma_f64 v[60:61], v[66:67], s[18:19], v[60:61]
	;; [unrolled: 1-line block ×3, first 2 shown]
	s_delay_alu instid0(VALU_DEP_4) | instskip(NEXT) | instid1(VALU_DEP_4)
	v_fma_f64 v[58:59], v[64:65], s[12:13], v[58:59]
	v_fma_f64 v[34:35], v[70:71], s[12:13], v[34:35]
	s_delay_alu instid0(VALU_DEP_4) | instskip(NEXT) | instid1(VALU_DEP_4)
	v_fma_f64 v[60:61], v[70:71], s[14:15], v[60:61]
	v_fma_f64 v[32:33], v[36:37], s[16:17], v[32:33]
	s_delay_alu instid0(VALU_DEP_4) | instskip(SKIP_4) | instid1(VALU_DEP_4)
	v_fma_f64 v[36:37], v[36:37], s[16:17], v[58:59]
	v_add_f64_e32 v[58:59], v[40:41], v[44:45]
	v_fma_f64 v[34:35], v[38:39], s[16:17], v[34:35]
	v_fma_f64 v[38:39], v[38:39], s[16:17], v[60:61]
	v_add_f64_e32 v[60:61], v[42:43], v[46:47]
	v_fma_f64 v[58:59], v[58:59], -0.5, v[0:1]
	v_add_f64_e32 v[0:1], v[0:1], v[4:5]
	v_add_f64_e64 v[4:5], v[4:5], -v[40:41]
	s_delay_alu instid0(VALU_DEP_4) | instskip(SKIP_3) | instid1(VALU_DEP_3)
	v_fma_f64 v[60:61], v[60:61], -0.5, v[2:3]
	v_add_f64_e32 v[2:3], v[2:3], v[6:7]
	v_add_f64_e64 v[6:7], v[6:7], -v[42:43]
	v_add_f64_e32 v[0:1], v[0:1], v[40:41]
	v_add_f64_e32 v[2:3], v[2:3], v[42:43]
	s_delay_alu instid0(VALU_DEP_2) | instskip(SKIP_1) | instid1(VALU_DEP_3)
	v_add_f64_e32 v[0:1], v[0:1], v[44:45]
	v_add_f64_e64 v[44:45], v[48:49], -v[44:45]
	v_add_f64_e32 v[2:3], v[2:3], v[46:47]
	s_delay_alu instid0(VALU_DEP_3)
	v_add_f64_e32 v[40:41], v[0:1], v[48:49]
	v_add_f64_e64 v[0:1], v[56:57], -v[46:47]
	v_fma_f64 v[46:47], v[64:65], s[18:19], v[58:59]
	v_fma_f64 v[48:49], v[70:71], s[18:19], v[60:61]
	v_add_f64_e32 v[4:5], v[4:5], v[44:45]
	v_add_f64_e32 v[42:43], v[2:3], v[56:57]
	v_fma_f64 v[2:3], v[64:65], s[20:21], v[58:59]
	v_fma_f64 v[56:57], v[70:71], s[20:21], v[60:61]
	v_add_f64_e32 v[0:1], v[6:7], v[0:1]
	v_fma_f64 v[6:7], v[62:63], s[12:13], v[46:47]
	v_fma_f64 v[46:47], v[66:67], s[12:13], v[48:49]
	;; [unrolled: 1-line block ×4, first 2 shown]
	s_delay_alu instid0(VALU_DEP_4) | instskip(NEXT) | instid1(VALU_DEP_4)
	v_fma_f64 v[56:57], v[4:5], s[16:17], v[6:7]
	v_fma_f64 v[46:47], v[0:1], s[16:17], v[46:47]
	s_delay_alu instid0(VALU_DEP_4) | instskip(NEXT) | instid1(VALU_DEP_4)
	v_fma_f64 v[44:45], v[4:5], s[16:17], v[2:3]
	v_fma_f64 v[58:59], v[0:1], s[16:17], v[48:49]
	ds_load_b128 v[0:3], v8 offset:8000
	ds_load_b128 v[60:63], v8 offset:2000
	;; [unrolled: 1-line block ×4, first 2 shown]
	global_wb scope:SCOPE_SE
	s_wait_dscnt 0x0
	s_barrier_signal -1
	s_barrier_wait -1
	global_inv scope:SCOPE_SE
	scratch_load_b32 v9, off, off offset:1060 th:TH_LOAD_LU ; 4-byte Folded Reload
	s_wait_loadcnt 0x0
	ds_store_b128 v9, v[40:43]
	ds_store_b128 v9, v[44:47] offset:80
	ds_store_b128 v9, v[32:35] offset:160
	;; [unrolled: 1-line block ×4, first 2 shown]
	v_add_f64_e64 v[32:33], v[50:51], -v[26:27]
	v_add_f64_e64 v[34:35], v[54:55], -v[68:69]
	;; [unrolled: 1-line block ×3, first 2 shown]
	scratch_load_b32 v9, off, off offset:988 th:TH_LOAD_LU ; 4-byte Folded Reload
	v_add_f64_e64 v[46:47], v[24:25], -v[94:95]
	v_add_f64_e64 v[48:49], v[50:51], -v[54:55]
	;; [unrolled: 1-line block ×3, first 2 shown]
	v_add_f64_e32 v[58:59], v[60:61], v[26:27]
	v_add_f64_e32 v[36:37], v[32:33], v[34:35]
	v_add_f64_e64 v[32:33], v[52:53], -v[24:25]
	v_add_f64_e64 v[34:35], v[28:29], -v[94:95]
	s_delay_alu instid0(VALU_DEP_1) | instskip(SKIP_1) | instid1(VALU_DEP_1)
	v_add_f64_e32 v[38:39], v[32:33], v[34:35]
	v_add_f64_e32 v[32:33], v[26:27], v[68:69]
	v_fma_f64 v[40:41], v[32:33], -0.5, v[60:61]
	v_add_f64_e32 v[32:33], v[24:25], v[94:95]
	s_delay_alu instid0(VALU_DEP_1) | instskip(NEXT) | instid1(VALU_DEP_3)
	v_fma_f64 v[42:43], v[32:33], -0.5, v[62:63]
	v_fma_f64 v[32:33], v[44:45], s[18:19], v[40:41]
	v_fma_f64 v[40:41], v[44:45], s[20:21], v[40:41]
	s_delay_alu instid0(VALU_DEP_3) | instskip(NEXT) | instid1(VALU_DEP_3)
	v_fma_f64 v[34:35], v[48:49], s[20:21], v[42:43]
	v_fma_f64 v[32:33], v[46:47], s[14:15], v[32:33]
	;; [unrolled: 1-line block ×3, first 2 shown]
	s_delay_alu instid0(VALU_DEP_4) | instskip(NEXT) | instid1(VALU_DEP_4)
	v_fma_f64 v[40:41], v[46:47], s[12:13], v[40:41]
	v_fma_f64 v[34:35], v[56:57], s[12:13], v[34:35]
	s_delay_alu instid0(VALU_DEP_4) | instskip(NEXT) | instid1(VALU_DEP_4)
	v_fma_f64 v[32:33], v[36:37], s[16:17], v[32:33]
	v_fma_f64 v[42:43], v[56:57], s[14:15], v[42:43]
	s_delay_alu instid0(VALU_DEP_4) | instskip(SKIP_2) | instid1(VALU_DEP_4)
	v_fma_f64 v[36:37], v[36:37], s[16:17], v[40:41]
	v_add_f64_e32 v[40:41], v[50:51], v[54:55]
	v_fma_f64 v[34:35], v[38:39], s[16:17], v[34:35]
	v_fma_f64 v[38:39], v[38:39], s[16:17], v[42:43]
	v_add_f64_e32 v[42:43], v[52:53], v[28:29]
	s_delay_alu instid0(VALU_DEP_4) | instskip(SKIP_1) | instid1(VALU_DEP_3)
	v_fma_f64 v[40:41], v[40:41], -0.5, v[60:61]
	v_add_f64_e32 v[60:61], v[62:63], v[24:25]
	v_fma_f64 v[42:43], v[42:43], -0.5, v[62:63]
	v_add_f64_e64 v[62:63], v[26:27], -v[50:51]
	v_add_f64_e32 v[26:27], v[58:59], v[50:51]
	s_delay_alu instid0(VALU_DEP_4) | instskip(SKIP_1) | instid1(VALU_DEP_3)
	v_add_f64_e32 v[50:51], v[60:61], v[52:53]
	v_add_f64_e64 v[52:53], v[24:25], -v[52:53]
	v_add_f64_e32 v[24:25], v[26:27], v[54:55]
	s_delay_alu instid0(VALU_DEP_3)
	v_add_f64_e32 v[26:27], v[50:51], v[28:29]
	v_add_f64_e64 v[50:51], v[68:69], -v[54:55]
	v_add_f64_e64 v[28:29], v[94:95], -v[28:29]
	v_fma_f64 v[54:55], v[46:47], s[20:21], v[40:41]
	v_fma_f64 v[40:41], v[46:47], s[18:19], v[40:41]
	;; [unrolled: 1-line block ×4, first 2 shown]
	v_add_f64_e32 v[24:25], v[24:25], v[68:69]
	v_add_f64_e32 v[26:27], v[26:27], v[94:95]
	;; [unrolled: 1-line block ×4, first 2 shown]
	v_fma_f64 v[52:53], v[44:45], s[14:15], v[54:55]
	v_fma_f64 v[44:45], v[44:45], s[12:13], v[40:41]
	;; [unrolled: 1-line block ×4, first 2 shown]
	s_delay_alu instid0(VALU_DEP_4) | instskip(NEXT) | instid1(VALU_DEP_4)
	v_fma_f64 v[40:41], v[50:51], s[16:17], v[52:53]
	v_fma_f64 v[44:45], v[50:51], s[16:17], v[44:45]
	s_delay_alu instid0(VALU_DEP_4) | instskip(NEXT) | instid1(VALU_DEP_4)
	v_fma_f64 v[42:43], v[28:29], s[16:17], v[46:47]
	v_fma_f64 v[46:47], v[28:29], s[16:17], v[48:49]
	s_wait_loadcnt 0x0
	ds_store_b128 v9, v[24:27]
	ds_store_b128 v9, v[40:43] offset:80
	ds_store_b128 v9, v[32:35] offset:160
	ds_store_b128 v9, v[36:39] offset:240
	ds_store_b128 v9, v[44:47] offset:320
	v_add_f64_e64 v[24:25], v[12:13], -v[10:11]
	v_add_f64_e64 v[26:27], v[18:19], -v[20:21]
	;; [unrolled: 1-line block ×6, first 2 shown]
	v_add_f64_e32 v[46:47], v[64:65], v[10:11]
	v_add_f64_e32 v[48:49], v[66:67], v[30:31]
	v_add_f64_e64 v[50:51], v[10:11], -v[12:13]
	v_add_f64_e32 v[28:29], v[24:25], v[26:27]
	v_add_f64_e64 v[24:25], v[14:15], -v[30:31]
	v_add_f64_e64 v[26:27], v[16:17], -v[22:23]
	s_delay_alu instid0(VALU_DEP_1) | instskip(SKIP_2) | instid1(VALU_DEP_2)
	v_add_f64_e32 v[34:35], v[24:25], v[26:27]
	v_add_f64_e32 v[24:25], v[10:11], v[20:21]
	;; [unrolled: 1-line block ×3, first 2 shown]
	v_fma_f64 v[32:33], v[24:25], -0.5, v[64:65]
	v_add_f64_e32 v[24:25], v[30:31], v[22:23]
	s_delay_alu instid0(VALU_DEP_3) | instskip(NEXT) | instid1(VALU_DEP_2)
	v_add_f64_e32 v[9:10], v[9:10], v[18:19]
	v_fma_f64 v[36:37], v[24:25], -0.5, v[66:67]
	s_delay_alu instid0(VALU_DEP_4) | instskip(SKIP_1) | instid1(VALU_DEP_4)
	v_fma_f64 v[24:25], v[38:39], s[18:19], v[32:33]
	v_fma_f64 v[32:33], v[38:39], s[20:21], v[32:33]
	v_add_f64_e32 v[9:10], v[9:10], v[20:21]
	s_delay_alu instid0(VALU_DEP_4) | instskip(SKIP_3) | instid1(VALU_DEP_4)
	v_fma_f64 v[26:27], v[42:43], s[20:21], v[36:37]
	v_fma_f64 v[36:37], v[42:43], s[18:19], v[36:37]
	;; [unrolled: 1-line block ×5, first 2 shown]
	s_delay_alu instid0(VALU_DEP_4) | instskip(NEXT) | instid1(VALU_DEP_4)
	v_fma_f64 v[36:37], v[44:45], s[14:15], v[36:37]
	v_fma_f64 v[24:25], v[28:29], s[16:17], v[24:25]
	s_delay_alu instid0(VALU_DEP_4)
	v_fma_f64 v[32:33], v[28:29], s[16:17], v[32:33]
	v_add_f64_e32 v[28:29], v[12:13], v[18:19]
	v_add_f64_e32 v[11:12], v[48:49], v[14:15]
	v_add_f64_e64 v[18:19], v[20:21], -v[18:19]
	v_fma_f64 v[26:27], v[34:35], s[16:17], v[26:27]
	v_fma_f64 v[34:35], v[34:35], s[16:17], v[36:37]
	v_add_f64_e32 v[36:37], v[14:15], v[16:17]
	v_add_f64_e64 v[13:14], v[30:31], -v[14:15]
	v_fma_f64 v[28:29], v[28:29], -0.5, v[64:65]
	v_add_f64_e32 v[11:12], v[11:12], v[16:17]
	v_add_f64_e64 v[15:16], v[22:23], -v[16:17]
	v_add_f64_e32 v[17:18], v[50:51], v[18:19]
	v_fma_f64 v[36:37], v[36:37], -0.5, v[66:67]
	v_fma_f64 v[20:21], v[40:41], s[20:21], v[28:29]
	v_add_f64_e32 v[11:12], v[11:12], v[22:23]
	v_fma_f64 v[22:23], v[40:41], s[18:19], v[28:29]
	s_delay_alu instid0(VALU_DEP_4)
	v_fma_f64 v[30:31], v[44:45], s[20:21], v[36:37]
	v_fma_f64 v[28:29], v[44:45], s[18:19], v[36:37]
	v_add_f64_e32 v[36:37], v[13:14], v[15:16]
	v_fma_f64 v[13:14], v[38:39], s[14:15], v[20:21]
	v_fma_f64 v[19:20], v[38:39], s[12:13], v[22:23]
	;; [unrolled: 1-line block ×4, first 2 shown]
	v_add_f64_e64 v[29:30], v[174:175], -v[178:179]
	v_fma_f64 v[13:14], v[17:18], s[16:17], v[13:14]
	v_fma_f64 v[17:18], v[17:18], s[16:17], v[19:20]
	v_fma_f64 v[19:20], v[36:37], s[16:17], v[21:22]
	scratch_load_b32 v21, off, off offset:1492 th:TH_LOAD_LU ; 4-byte Folded Reload
	v_fma_f64 v[15:16], v[36:37], s[16:17], v[15:16]
	s_wait_loadcnt 0x0
	ds_store_b128 v21, v[9:12]
	ds_store_b128 v21, v[13:16] offset:80
	ds_store_b128 v21, v[24:27] offset:160
	;; [unrolled: 1-line block ×4, first 2 shown]
	v_add_f64_e64 v[9:10], v[178:179], -v[174:175]
	v_add_f64_e64 v[11:12], v[182:183], -v[184:185]
	;; [unrolled: 1-line block ×9, first 2 shown]
	v_add_f64_e32 v[13:14], v[9:10], v[11:12]
	v_add_f64_e64 v[9:10], v[180:181], -v[172:173]
	v_add_f64_e64 v[11:12], v[176:177], -v[186:187]
	s_delay_alu instid0(VALU_DEP_1) | instskip(SKIP_1) | instid1(VALU_DEP_1)
	v_add_f64_e32 v[15:16], v[9:10], v[11:12]
	v_add_f64_e32 v[9:10], v[174:175], v[184:185]
	v_fma_f64 v[17:18], v[9:10], -0.5, v[4:5]
	v_add_f64_e32 v[9:10], v[172:173], v[186:187]
	s_delay_alu instid0(VALU_DEP_1) | instskip(NEXT) | instid1(VALU_DEP_3)
	v_fma_f64 v[19:20], v[9:10], -0.5, v[6:7]
	v_fma_f64 v[9:10], v[21:22], s[18:19], v[17:18]
	v_fma_f64 v[17:18], v[21:22], s[20:21], v[17:18]
	s_delay_alu instid0(VALU_DEP_3) | instskip(SKIP_1) | instid1(VALU_DEP_4)
	v_fma_f64 v[11:12], v[25:26], s[20:21], v[19:20]
	v_fma_f64 v[19:20], v[25:26], s[18:19], v[19:20]
	v_fma_f64 v[9:10], v[23:24], s[14:15], v[9:10]
	s_delay_alu instid0(VALU_DEP_4) | instskip(NEXT) | instid1(VALU_DEP_4)
	v_fma_f64 v[17:18], v[23:24], s[12:13], v[17:18]
	v_fma_f64 v[11:12], v[27:28], s[12:13], v[11:12]
	s_delay_alu instid0(VALU_DEP_4) | instskip(NEXT) | instid1(VALU_DEP_4)
	v_fma_f64 v[19:20], v[27:28], s[14:15], v[19:20]
	v_fma_f64 v[9:10], v[13:14], s[16:17], v[9:10]
	s_delay_alu instid0(VALU_DEP_4) | instskip(SKIP_4) | instid1(VALU_DEP_4)
	v_fma_f64 v[13:14], v[13:14], s[16:17], v[17:18]
	v_add_f64_e32 v[17:18], v[178:179], v[182:183]
	v_fma_f64 v[11:12], v[15:16], s[16:17], v[11:12]
	v_fma_f64 v[15:16], v[15:16], s[16:17], v[19:20]
	v_add_f64_e32 v[19:20], v[180:181], v[176:177]
	v_fma_f64 v[17:18], v[17:18], -0.5, v[4:5]
	v_add_f64_e32 v[4:5], v[4:5], v[174:175]
	s_delay_alu instid0(VALU_DEP_3) | instskip(SKIP_1) | instid1(VALU_DEP_4)
	v_fma_f64 v[19:20], v[19:20], -0.5, v[6:7]
	v_add_f64_e32 v[6:7], v[6:7], v[172:173]
	v_fma_f64 v[37:38], v[23:24], s[20:21], v[17:18]
	v_fma_f64 v[17:18], v[23:24], s[18:19], v[17:18]
	v_add_f64_e32 v[4:5], v[4:5], v[178:179]
	v_fma_f64 v[23:24], v[27:28], s[18:19], v[19:20]
	v_fma_f64 v[19:20], v[27:28], s[20:21], v[19:20]
	v_add_f64_e32 v[27:28], v[29:30], v[33:34]
	v_add_f64_e32 v[29:30], v[31:32], v[35:36]
	;; [unrolled: 1-line block ×4, first 2 shown]
	v_fma_f64 v[31:32], v[21:22], s[14:15], v[37:38]
	v_fma_f64 v[21:22], v[21:22], s[12:13], v[17:18]
	;; [unrolled: 1-line block ×4, first 2 shown]
	v_add_f64_e32 v[6:7], v[6:7], v[176:177]
	v_add_f64_e32 v[4:5], v[4:5], v[184:185]
	v_fma_f64 v[17:18], v[27:28], s[16:17], v[31:32]
	v_fma_f64 v[21:22], v[27:28], s[16:17], v[21:22]
	v_add_f64_e64 v[27:28], v[188:189], -v[196:197]
	v_add_f64_e64 v[31:32], v[202:203], -v[192:193]
	v_fma_f64 v[19:20], v[29:30], s[16:17], v[23:24]
	v_fma_f64 v[23:24], v[29:30], s[16:17], v[25:26]
	scratch_load_b32 v25, off, off offset:1400 th:TH_LOAD_LU ; 4-byte Folded Reload
	v_add_f64_e64 v[29:30], v[200:201], -v[198:199]
	v_add_f64_e32 v[6:7], v[6:7], v[186:187]
	s_wait_loadcnt 0x0
	ds_store_b128 v25, v[4:7]
	ds_store_b128 v25, v[17:20] offset:80
	ds_store_b128 v25, v[9:12] offset:160
	;; [unrolled: 1-line block ×4, first 2 shown]
	v_add_f64_e64 v[4:5], v[194:195], -v[190:191]
	v_add_f64_e64 v[6:7], v[198:199], -v[200:201]
	;; [unrolled: 1-line block ×7, first 2 shown]
	v_add_f64_e32 v[9:10], v[4:5], v[6:7]
	v_add_f64_e64 v[4:5], v[196:197], -v[188:189]
	v_add_f64_e64 v[6:7], v[192:193], -v[202:203]
	s_delay_alu instid0(VALU_DEP_1) | instskip(SKIP_1) | instid1(VALU_DEP_1)
	v_add_f64_e32 v[11:12], v[4:5], v[6:7]
	v_add_f64_e32 v[4:5], v[190:191], v[200:201]
	v_fma_f64 v[13:14], v[4:5], -0.5, v[0:1]
	v_add_f64_e32 v[4:5], v[188:189], v[202:203]
	s_delay_alu instid0(VALU_DEP_1) | instskip(NEXT) | instid1(VALU_DEP_3)
	v_fma_f64 v[15:16], v[4:5], -0.5, v[2:3]
	v_fma_f64 v[4:5], v[17:18], s[18:19], v[13:14]
	v_fma_f64 v[13:14], v[17:18], s[20:21], v[13:14]
	s_delay_alu instid0(VALU_DEP_3) | instskip(SKIP_1) | instid1(VALU_DEP_4)
	v_fma_f64 v[6:7], v[21:22], s[20:21], v[15:16]
	v_fma_f64 v[15:16], v[21:22], s[18:19], v[15:16]
	;; [unrolled: 1-line block ×3, first 2 shown]
	s_delay_alu instid0(VALU_DEP_4) | instskip(NEXT) | instid1(VALU_DEP_4)
	v_fma_f64 v[13:14], v[19:20], s[12:13], v[13:14]
	v_fma_f64 v[6:7], v[23:24], s[12:13], v[6:7]
	s_delay_alu instid0(VALU_DEP_4) | instskip(NEXT) | instid1(VALU_DEP_4)
	v_fma_f64 v[15:16], v[23:24], s[14:15], v[15:16]
	v_fma_f64 v[4:5], v[9:10], s[16:17], v[4:5]
	s_delay_alu instid0(VALU_DEP_4) | instskip(SKIP_4) | instid1(VALU_DEP_4)
	v_fma_f64 v[9:10], v[9:10], s[16:17], v[13:14]
	v_add_f64_e32 v[13:14], v[194:195], v[198:199]
	v_fma_f64 v[6:7], v[11:12], s[16:17], v[6:7]
	v_fma_f64 v[11:12], v[11:12], s[16:17], v[15:16]
	v_add_f64_e32 v[15:16], v[196:197], v[192:193]
	v_fma_f64 v[13:14], v[13:14], -0.5, v[0:1]
	v_add_f64_e32 v[0:1], v[0:1], v[190:191]
	s_delay_alu instid0(VALU_DEP_3) | instskip(SKIP_1) | instid1(VALU_DEP_4)
	v_fma_f64 v[15:16], v[15:16], -0.5, v[2:3]
	v_add_f64_e32 v[2:3], v[2:3], v[188:189]
	v_fma_f64 v[33:34], v[19:20], s[20:21], v[13:14]
	v_fma_f64 v[13:14], v[19:20], s[18:19], v[13:14]
	v_add_f64_e32 v[0:1], v[0:1], v[194:195]
	v_fma_f64 v[19:20], v[23:24], s[18:19], v[15:16]
	v_fma_f64 v[15:16], v[23:24], s[20:21], v[15:16]
	v_add_f64_e32 v[23:24], v[25:26], v[29:30]
	v_add_f64_e32 v[25:26], v[27:28], v[31:32]
	;; [unrolled: 1-line block ×4, first 2 shown]
	v_fma_f64 v[27:28], v[17:18], s[14:15], v[33:34]
	v_fma_f64 v[17:18], v[17:18], s[12:13], v[13:14]
	;; [unrolled: 1-line block ×4, first 2 shown]
	v_add_f64_e32 v[2:3], v[2:3], v[192:193]
	v_add_f64_e32 v[0:1], v[0:1], v[200:201]
	v_fma_f64 v[13:14], v[23:24], s[16:17], v[27:28]
	v_fma_f64 v[17:18], v[23:24], s[16:17], v[17:18]
	v_fma_f64 v[15:16], v[25:26], s[16:17], v[19:20]
	v_fma_f64 v[19:20], v[25:26], s[16:17], v[21:22]
	scratch_load_b32 v21, off, off offset:1132 th:TH_LOAD_LU ; 4-byte Folded Reload
	v_add_f64_e32 v[2:3], v[2:3], v[202:203]
	s_wait_loadcnt 0x0
	ds_store_b128 v21, v[0:3]
	ds_store_b128 v21, v[13:16] offset:80
	ds_store_b128 v21, v[4:7] offset:160
	ds_store_b128 v21, v[9:12] offset:240
	ds_store_b128 v21, v[17:20] offset:320
	global_wb scope:SCOPE_SE
	s_wait_dscnt 0x0
	s_barrier_signal -1
	s_barrier_wait -1
	global_inv scope:SCOPE_SE
	s_clause 0x1
	scratch_load_b128 v[9:12], off, off offset:852 th:TH_LOAD_LU
	scratch_load_b128 v[16:19], off, off offset:1200 th:TH_LOAD_LU
	ds_load_b128 v[0:3], v8 offset:10000
	s_clause 0x1
	scratch_load_b128 v[20:23], off, off offset:1216 th:TH_LOAD_LU
	scratch_load_b128 v[32:35], off, off offset:1232 th:TH_LOAD_LU
	s_wait_loadcnt_dscnt 0x300
	v_mul_f64_e32 v[4:5], v[11:12], v[2:3]
	s_delay_alu instid0(VALU_DEP_1)
	v_fma_f64 v[4:5], v[9:10], v[0:1], v[4:5]
	v_mul_f64_e32 v[0:1], v[11:12], v[0:1]
	scratch_load_b128 v[11:14], off, off offset:868 th:TH_LOAD_LU ; 16-byte Folded Reload
	v_fma_f64 v[6:7], v[9:10], v[2:3], -v[0:1]
	ds_load_b128 v[0:3], v8 offset:20000
	s_wait_loadcnt_dscnt 0x0
	v_mul_f64_e32 v[9:10], v[13:14], v[2:3]
	s_delay_alu instid0(VALU_DEP_1) | instskip(SKIP_1) | instid1(VALU_DEP_1)
	v_fma_f64 v[40:41], v[11:12], v[0:1], v[9:10]
	v_mul_f64_e32 v[0:1], v[13:14], v[0:1]
	v_fma_f64 v[42:43], v[11:12], v[2:3], -v[0:1]
	scratch_load_b128 v[11:14], off, off offset:884 th:TH_LOAD_LU ; 16-byte Folded Reload
	ds_load_b128 v[0:3], v8 offset:30000
	s_wait_loadcnt_dscnt 0x0
	v_mul_f64_e32 v[9:10], v[13:14], v[2:3]
	s_delay_alu instid0(VALU_DEP_1) | instskip(SKIP_1) | instid1(VALU_DEP_2)
	v_fma_f64 v[44:45], v[11:12], v[0:1], v[9:10]
	v_mul_f64_e32 v[0:1], v[13:14], v[0:1]
	v_add_f64_e64 v[66:67], v[40:41], -v[44:45]
	s_delay_alu instid0(VALU_DEP_2)
	v_fma_f64 v[46:47], v[11:12], v[2:3], -v[0:1]
	scratch_load_b128 v[11:14], off, off offset:900 th:TH_LOAD_LU ; 16-byte Folded Reload
	ds_load_b128 v[0:3], v8 offset:40000
	v_add_f64_e64 v[62:63], v[42:43], -v[46:47]
	s_wait_loadcnt_dscnt 0x0
	v_mul_f64_e32 v[9:10], v[13:14], v[2:3]
	s_delay_alu instid0(VALU_DEP_1) | instskip(SKIP_1) | instid1(VALU_DEP_2)
	v_fma_f64 v[48:49], v[11:12], v[0:1], v[9:10]
	v_mul_f64_e32 v[0:1], v[13:14], v[0:1]
	v_add_f64_e64 v[70:71], v[4:5], -v[48:49]
	s_delay_alu instid0(VALU_DEP_2)
	v_fma_f64 v[56:57], v[11:12], v[2:3], -v[0:1]
	scratch_load_b128 v[11:14], off, off offset:920 th:TH_LOAD_LU ; 16-byte Folded Reload
	ds_load_b128 v[0:3], v8 offset:12000
	v_add_f64_e64 v[64:65], v[6:7], -v[56:57]
	s_wait_loadcnt_dscnt 0x0
	v_mul_f64_e32 v[9:10], v[13:14], v[2:3]
	s_delay_alu instid0(VALU_DEP_1) | instskip(SKIP_1) | instid1(VALU_DEP_1)
	v_fma_f64 v[26:27], v[11:12], v[0:1], v[9:10]
	v_mul_f64_e32 v[0:1], v[13:14], v[0:1]
	v_fma_f64 v[24:25], v[11:12], v[2:3], -v[0:1]
	scratch_load_b128 v[11:14], off, off offset:936 th:TH_LOAD_LU ; 16-byte Folded Reload
	ds_load_b128 v[0:3], v8 offset:22000
	s_wait_loadcnt_dscnt 0x0
	v_mul_f64_e32 v[9:10], v[13:14], v[2:3]
	s_delay_alu instid0(VALU_DEP_1) | instskip(SKIP_1) | instid1(VALU_DEP_1)
	v_fma_f64 v[50:51], v[11:12], v[0:1], v[9:10]
	v_mul_f64_e32 v[0:1], v[13:14], v[0:1]
	v_fma_f64 v[52:53], v[11:12], v[2:3], -v[0:1]
	scratch_load_b128 v[11:14], off, off offset:952 th:TH_LOAD_LU ; 16-byte Folded Reload
	ds_load_b128 v[0:3], v8 offset:32000
	;; [unrolled: 8-line block ×12, first 2 shown]
	s_wait_loadcnt_dscnt 0x0
	v_mul_f64_e32 v[9:10], v[14:15], v[2:3]
	s_delay_alu instid0(VALU_DEP_1) | instskip(SKIP_1) | instid1(VALU_DEP_1)
	v_fma_f64 v[10:11], v[12:13], v[0:1], v[9:10]
	v_mul_f64_e32 v[0:1], v[14:15], v[0:1]
	v_fma_f64 v[30:31], v[12:13], v[2:3], -v[0:1]
	ds_load_b128 v[0:3], v8 offset:28000
	s_wait_dscnt 0x0
	v_mul_f64_e32 v[12:13], v[18:19], v[2:3]
	s_delay_alu instid0(VALU_DEP_1) | instskip(SKIP_1) | instid1(VALU_DEP_1)
	v_fma_f64 v[14:15], v[16:17], v[0:1], v[12:13]
	v_mul_f64_e32 v[0:1], v[18:19], v[0:1]
	v_fma_f64 v[16:17], v[16:17], v[2:3], -v[0:1]
	ds_load_b128 v[0:3], v8 offset:38000
	s_wait_dscnt 0x0
	;; [unrolled: 7-line block ×3, first 2 shown]
	v_mul_f64_e32 v[20:21], v[34:35], v[2:3]
	s_delay_alu instid0(VALU_DEP_1) | instskip(SKIP_1) | instid1(VALU_DEP_1)
	v_fma_f64 v[20:21], v[32:33], v[0:1], v[20:21]
	v_mul_f64_e32 v[0:1], v[34:35], v[0:1]
	v_fma_f64 v[22:23], v[32:33], v[2:3], -v[0:1]
	v_add_f64_e64 v[0:1], v[40:41], -v[4:5]
	v_add_f64_e64 v[2:3], v[44:45], -v[48:49]
	v_add_f64_e32 v[32:33], v[4:5], v[48:49]
	s_delay_alu instid0(VALU_DEP_2) | instskip(SKIP_2) | instid1(VALU_DEP_1)
	v_add_f64_e32 v[36:37], v[0:1], v[2:3]
	v_add_f64_e64 v[0:1], v[42:43], -v[6:7]
	v_add_f64_e64 v[2:3], v[46:47], -v[56:57]
	v_add_f64_e32 v[38:39], v[0:1], v[2:3]
	ds_load_b128 v[0:3], v8
	s_wait_dscnt 0x0
	v_fma_f64 v[58:59], v[32:33], -0.5, v[0:1]
	v_add_f64_e32 v[32:33], v[6:7], v[56:57]
	s_delay_alu instid0(VALU_DEP_1) | instskip(NEXT) | instid1(VALU_DEP_3)
	v_fma_f64 v[60:61], v[32:33], -0.5, v[2:3]
	v_fma_f64 v[32:33], v[62:63], s[18:19], v[58:59]
	v_fma_f64 v[58:59], v[62:63], s[20:21], v[58:59]
	s_delay_alu instid0(VALU_DEP_3) | instskip(SKIP_1) | instid1(VALU_DEP_4)
	v_fma_f64 v[34:35], v[66:67], s[20:21], v[60:61]
	v_fma_f64 v[60:61], v[66:67], s[18:19], v[60:61]
	;; [unrolled: 1-line block ×3, first 2 shown]
	s_delay_alu instid0(VALU_DEP_4) | instskip(NEXT) | instid1(VALU_DEP_4)
	v_fma_f64 v[58:59], v[64:65], s[12:13], v[58:59]
	v_fma_f64 v[34:35], v[70:71], s[12:13], v[34:35]
	s_delay_alu instid0(VALU_DEP_4) | instskip(NEXT) | instid1(VALU_DEP_4)
	v_fma_f64 v[60:61], v[70:71], s[14:15], v[60:61]
	v_fma_f64 v[32:33], v[36:37], s[16:17], v[32:33]
	s_delay_alu instid0(VALU_DEP_4) | instskip(SKIP_4) | instid1(VALU_DEP_4)
	v_fma_f64 v[36:37], v[36:37], s[16:17], v[58:59]
	v_add_f64_e32 v[58:59], v[40:41], v[44:45]
	v_fma_f64 v[34:35], v[38:39], s[16:17], v[34:35]
	v_fma_f64 v[38:39], v[38:39], s[16:17], v[60:61]
	v_add_f64_e32 v[60:61], v[42:43], v[46:47]
	v_fma_f64 v[58:59], v[58:59], -0.5, v[0:1]
	v_add_f64_e32 v[0:1], v[0:1], v[4:5]
	v_add_f64_e64 v[4:5], v[4:5], -v[40:41]
	s_delay_alu instid0(VALU_DEP_4) | instskip(SKIP_3) | instid1(VALU_DEP_3)
	v_fma_f64 v[60:61], v[60:61], -0.5, v[2:3]
	v_add_f64_e32 v[2:3], v[2:3], v[6:7]
	v_add_f64_e64 v[6:7], v[6:7], -v[42:43]
	v_add_f64_e32 v[0:1], v[0:1], v[40:41]
	v_add_f64_e32 v[2:3], v[2:3], v[42:43]
	s_delay_alu instid0(VALU_DEP_2) | instskip(SKIP_1) | instid1(VALU_DEP_3)
	v_add_f64_e32 v[0:1], v[0:1], v[44:45]
	v_add_f64_e64 v[44:45], v[48:49], -v[44:45]
	v_add_f64_e32 v[2:3], v[2:3], v[46:47]
	s_delay_alu instid0(VALU_DEP_3)
	v_add_f64_e32 v[40:41], v[0:1], v[48:49]
	v_add_f64_e64 v[0:1], v[56:57], -v[46:47]
	v_fma_f64 v[46:47], v[64:65], s[18:19], v[58:59]
	v_fma_f64 v[48:49], v[70:71], s[18:19], v[60:61]
	v_add_f64_e32 v[4:5], v[4:5], v[44:45]
	v_add_f64_e32 v[42:43], v[2:3], v[56:57]
	v_fma_f64 v[2:3], v[64:65], s[20:21], v[58:59]
	v_fma_f64 v[56:57], v[70:71], s[20:21], v[60:61]
	v_add_f64_e32 v[0:1], v[6:7], v[0:1]
	v_fma_f64 v[6:7], v[62:63], s[12:13], v[46:47]
	v_fma_f64 v[46:47], v[66:67], s[12:13], v[48:49]
	v_fma_f64 v[2:3], v[62:63], s[14:15], v[2:3]
	v_fma_f64 v[48:49], v[66:67], s[14:15], v[56:57]
	s_delay_alu instid0(VALU_DEP_4) | instskip(NEXT) | instid1(VALU_DEP_4)
	v_fma_f64 v[56:57], v[4:5], s[16:17], v[6:7]
	v_fma_f64 v[46:47], v[0:1], s[16:17], v[46:47]
	s_delay_alu instid0(VALU_DEP_4) | instskip(NEXT) | instid1(VALU_DEP_4)
	v_fma_f64 v[44:45], v[4:5], s[16:17], v[2:3]
	v_fma_f64 v[58:59], v[0:1], s[16:17], v[48:49]
	ds_load_b128 v[0:3], v8 offset:8000
	ds_load_b128 v[60:63], v8 offset:2000
	;; [unrolled: 1-line block ×4, first 2 shown]
	global_wb scope:SCOPE_SE
	s_wait_dscnt 0x0
	s_barrier_signal -1
	s_barrier_wait -1
	global_inv scope:SCOPE_SE
	scratch_load_b32 v9, off, off offset:1516 th:TH_LOAD_LU ; 4-byte Folded Reload
	s_wait_loadcnt 0x0
	ds_store_b128 v9, v[40:43]
	ds_store_b128 v9, v[44:47] offset:400
	ds_store_b128 v9, v[32:35] offset:800
	ds_store_b128 v9, v[36:39] offset:1200
	ds_store_b128 v9, v[56:59] offset:1600
	v_add_f64_e64 v[32:33], v[50:51], -v[26:27]
	v_add_f64_e64 v[34:35], v[54:55], -v[68:69]
	;; [unrolled: 1-line block ×3, first 2 shown]
	scratch_load_b32 v9, off, off offset:1496 th:TH_LOAD_LU ; 4-byte Folded Reload
	v_add_f64_e64 v[46:47], v[24:25], -v[94:95]
	v_add_f64_e64 v[48:49], v[50:51], -v[54:55]
	;; [unrolled: 1-line block ×3, first 2 shown]
	v_add_f64_e32 v[58:59], v[60:61], v[26:27]
	v_add_f64_e32 v[36:37], v[32:33], v[34:35]
	v_add_f64_e64 v[32:33], v[52:53], -v[24:25]
	v_add_f64_e64 v[34:35], v[28:29], -v[94:95]
	s_delay_alu instid0(VALU_DEP_1) | instskip(SKIP_1) | instid1(VALU_DEP_1)
	v_add_f64_e32 v[38:39], v[32:33], v[34:35]
	v_add_f64_e32 v[32:33], v[26:27], v[68:69]
	v_fma_f64 v[40:41], v[32:33], -0.5, v[60:61]
	v_add_f64_e32 v[32:33], v[24:25], v[94:95]
	s_delay_alu instid0(VALU_DEP_1) | instskip(NEXT) | instid1(VALU_DEP_3)
	v_fma_f64 v[42:43], v[32:33], -0.5, v[62:63]
	v_fma_f64 v[32:33], v[44:45], s[18:19], v[40:41]
	v_fma_f64 v[40:41], v[44:45], s[20:21], v[40:41]
	s_delay_alu instid0(VALU_DEP_3) | instskip(NEXT) | instid1(VALU_DEP_3)
	v_fma_f64 v[34:35], v[48:49], s[20:21], v[42:43]
	v_fma_f64 v[32:33], v[46:47], s[14:15], v[32:33]
	;; [unrolled: 1-line block ×3, first 2 shown]
	s_delay_alu instid0(VALU_DEP_4) | instskip(NEXT) | instid1(VALU_DEP_4)
	v_fma_f64 v[40:41], v[46:47], s[12:13], v[40:41]
	v_fma_f64 v[34:35], v[56:57], s[12:13], v[34:35]
	s_delay_alu instid0(VALU_DEP_4) | instskip(NEXT) | instid1(VALU_DEP_4)
	v_fma_f64 v[32:33], v[36:37], s[16:17], v[32:33]
	v_fma_f64 v[42:43], v[56:57], s[14:15], v[42:43]
	s_delay_alu instid0(VALU_DEP_4) | instskip(SKIP_2) | instid1(VALU_DEP_4)
	v_fma_f64 v[36:37], v[36:37], s[16:17], v[40:41]
	v_add_f64_e32 v[40:41], v[50:51], v[54:55]
	v_fma_f64 v[34:35], v[38:39], s[16:17], v[34:35]
	v_fma_f64 v[38:39], v[38:39], s[16:17], v[42:43]
	v_add_f64_e32 v[42:43], v[52:53], v[28:29]
	s_delay_alu instid0(VALU_DEP_4) | instskip(SKIP_1) | instid1(VALU_DEP_3)
	v_fma_f64 v[40:41], v[40:41], -0.5, v[60:61]
	v_add_f64_e32 v[60:61], v[62:63], v[24:25]
	v_fma_f64 v[42:43], v[42:43], -0.5, v[62:63]
	v_add_f64_e64 v[62:63], v[26:27], -v[50:51]
	v_add_f64_e32 v[26:27], v[58:59], v[50:51]
	s_delay_alu instid0(VALU_DEP_4) | instskip(SKIP_1) | instid1(VALU_DEP_3)
	v_add_f64_e32 v[50:51], v[60:61], v[52:53]
	v_add_f64_e64 v[52:53], v[24:25], -v[52:53]
	v_add_f64_e32 v[24:25], v[26:27], v[54:55]
	s_delay_alu instid0(VALU_DEP_3)
	v_add_f64_e32 v[26:27], v[50:51], v[28:29]
	v_add_f64_e64 v[50:51], v[68:69], -v[54:55]
	v_add_f64_e64 v[28:29], v[94:95], -v[28:29]
	v_fma_f64 v[54:55], v[46:47], s[20:21], v[40:41]
	v_fma_f64 v[40:41], v[46:47], s[18:19], v[40:41]
	v_fma_f64 v[46:47], v[56:57], s[18:19], v[42:43]
	v_fma_f64 v[42:43], v[56:57], s[20:21], v[42:43]
	v_add_f64_e64 v[56:57], v[170:171], -v[180:181]
	v_add_f64_e32 v[24:25], v[24:25], v[68:69]
	v_add_f64_e32 v[26:27], v[26:27], v[94:95]
	v_add_f64_e32 v[50:51], v[62:63], v[50:51]
	v_add_f64_e32 v[28:29], v[52:53], v[28:29]
	v_fma_f64 v[52:53], v[44:45], s[14:15], v[54:55]
	v_fma_f64 v[44:45], v[44:45], s[12:13], v[40:41]
	;; [unrolled: 1-line block ×4, first 2 shown]
	v_add_f64_e64 v[54:55], v[184:185], -v[182:183]
	v_fma_f64 v[40:41], v[50:51], s[16:17], v[52:53]
	v_fma_f64 v[44:45], v[50:51], s[16:17], v[44:45]
	;; [unrolled: 1-line block ×4, first 2 shown]
	s_wait_loadcnt 0x0
	ds_store_b128 v9, v[24:27]
	ds_store_b128 v9, v[40:43] offset:400
	ds_store_b128 v9, v[32:35] offset:800
	;; [unrolled: 1-line block ×4, first 2 shown]
	v_add_f64_e64 v[24:25], v[176:177], -v[174:175]
	v_add_f64_e64 v[26:27], v[182:183], -v[184:185]
	scratch_load_b32 v9, off, off offset:1420 th:TH_LOAD_LU ; 4-byte Folded Reload
	v_add_f64_e64 v[44:45], v[176:177], -v[182:183]
	v_add_f64_e64 v[40:41], v[178:179], -v[180:181]
	;; [unrolled: 1-line block ×4, first 2 shown]
	v_add_f64_e32 v[38:39], v[66:67], v[172:173]
	v_add_f64_e64 v[50:51], v[174:175], -v[176:177]
	v_add_f64_e64 v[52:53], v[172:173], -v[178:179]
	v_add_f64_e32 v[28:29], v[24:25], v[26:27]
	v_add_f64_e64 v[24:25], v[178:179], -v[172:173]
	v_add_f64_e64 v[26:27], v[180:181], -v[170:171]
	v_add_f64_e32 v[38:39], v[38:39], v[178:179]
	s_delay_alu instid0(VALU_DEP_2) | instskip(SKIP_1) | instid1(VALU_DEP_3)
	v_add_f64_e32 v[34:35], v[24:25], v[26:27]
	v_add_f64_e32 v[24:25], v[174:175], v[184:185]
	v_add_f64_e32 v[38:39], v[38:39], v[180:181]
	s_delay_alu instid0(VALU_DEP_2) | instskip(SKIP_1) | instid1(VALU_DEP_3)
	v_fma_f64 v[32:33], v[24:25], -0.5, v[64:65]
	v_add_f64_e32 v[24:25], v[172:173], v[170:171]
	v_add_f64_e32 v[38:39], v[38:39], v[170:171]
	s_delay_alu instid0(VALU_DEP_2) | instskip(NEXT) | instid1(VALU_DEP_4)
	v_fma_f64 v[36:37], v[24:25], -0.5, v[66:67]
	v_fma_f64 v[24:25], v[40:41], s[18:19], v[32:33]
	v_fma_f64 v[32:33], v[40:41], s[20:21], v[32:33]
	s_delay_alu instid0(VALU_DEP_3) | instskip(SKIP_1) | instid1(VALU_DEP_4)
	v_fma_f64 v[26:27], v[44:45], s[20:21], v[36:37]
	v_fma_f64 v[36:37], v[44:45], s[18:19], v[36:37]
	;; [unrolled: 1-line block ×3, first 2 shown]
	s_delay_alu instid0(VALU_DEP_4) | instskip(NEXT) | instid1(VALU_DEP_4)
	v_fma_f64 v[32:33], v[42:43], s[12:13], v[32:33]
	v_fma_f64 v[26:27], v[46:47], s[12:13], v[26:27]
	s_delay_alu instid0(VALU_DEP_4) | instskip(NEXT) | instid1(VALU_DEP_4)
	v_fma_f64 v[36:37], v[46:47], s[14:15], v[36:37]
	v_fma_f64 v[24:25], v[28:29], s[16:17], v[24:25]
	s_delay_alu instid0(VALU_DEP_4) | instskip(SKIP_4) | instid1(VALU_DEP_4)
	v_fma_f64 v[32:33], v[28:29], s[16:17], v[32:33]
	v_add_f64_e32 v[28:29], v[176:177], v[182:183]
	v_fma_f64 v[26:27], v[34:35], s[16:17], v[26:27]
	v_fma_f64 v[34:35], v[34:35], s[16:17], v[36:37]
	v_add_f64_e32 v[36:37], v[178:179], v[180:181]
	v_fma_f64 v[28:29], v[28:29], -0.5, v[64:65]
	s_delay_alu instid0(VALU_DEP_2) | instskip(SKIP_1) | instid1(VALU_DEP_3)
	v_fma_f64 v[48:49], v[36:37], -0.5, v[66:67]
	v_add_f64_e32 v[36:37], v[64:65], v[174:175]
	v_fma_f64 v[58:59], v[42:43], s[20:21], v[28:29]
	v_fma_f64 v[28:29], v[42:43], s[18:19], v[28:29]
	s_delay_alu instid0(VALU_DEP_4) | instskip(NEXT) | instid1(VALU_DEP_4)
	v_fma_f64 v[42:43], v[46:47], s[18:19], v[48:49]
	v_add_f64_e32 v[36:37], v[36:37], v[176:177]
	v_fma_f64 v[46:47], v[46:47], s[20:21], v[48:49]
	v_add_f64_e32 v[48:49], v[50:51], v[54:55]
	v_add_f64_e32 v[50:51], v[52:53], v[56:57]
	v_fma_f64 v[52:53], v[40:41], s[14:15], v[58:59]
	v_fma_f64 v[28:29], v[40:41], s[12:13], v[28:29]
	;; [unrolled: 1-line block ×3, first 2 shown]
	v_add_f64_e32 v[36:37], v[36:37], v[182:183]
	v_fma_f64 v[46:47], v[44:45], s[14:15], v[46:47]
	v_fma_f64 v[40:41], v[48:49], s[16:17], v[52:53]
	v_fma_f64 v[44:45], v[48:49], s[16:17], v[28:29]
	v_add_f64_e64 v[48:49], v[164:165], -v[160:161]
	v_add_f64_e64 v[52:53], v[156:157], -v[152:153]
	v_fma_f64 v[42:43], v[50:51], s[16:17], v[42:43]
	v_add_f64_e32 v[36:37], v[36:37], v[184:185]
	v_fma_f64 v[46:47], v[50:51], s[16:17], v[46:47]
	s_wait_loadcnt 0x0
	ds_store_b128 v9, v[36:39]
	ds_store_b128 v9, v[40:43] offset:400
	ds_store_b128 v9, v[24:27] offset:800
	;; [unrolled: 1-line block ×4, first 2 shown]
	v_add_f64_e64 v[24:25], v[166:167], -v[168:169]
	v_add_f64_e64 v[26:27], v[162:163], -v[154:155]
	scratch_load_b32 v9, off, off offset:1328 th:TH_LOAD_LU ; 4-byte Folded Reload
	v_add_f64_e64 v[38:39], v[160:161], -v[152:153]
	v_add_f64_e64 v[42:43], v[166:167], -v[162:163]
	;; [unrolled: 1-line block ×6, first 2 shown]
	v_add_f64_e32 v[28:29], v[24:25], v[26:27]
	v_add_f64_e64 v[24:25], v[160:161], -v[164:165]
	v_add_f64_e64 v[26:27], v[152:153], -v[156:157]
	s_delay_alu instid0(VALU_DEP_1) | instskip(SKIP_1) | instid1(VALU_DEP_1)
	v_add_f64_e32 v[34:35], v[24:25], v[26:27]
	v_add_f64_e32 v[24:25], v[168:169], v[154:155]
	v_fma_f64 v[32:33], v[24:25], -0.5, v[4:5]
	v_add_f64_e32 v[24:25], v[164:165], v[156:157]
	s_delay_alu instid0(VALU_DEP_1) | instskip(NEXT) | instid1(VALU_DEP_3)
	v_fma_f64 v[36:37], v[24:25], -0.5, v[6:7]
	v_fma_f64 v[24:25], v[38:39], s[18:19], v[32:33]
	v_fma_f64 v[32:33], v[38:39], s[20:21], v[32:33]
	s_delay_alu instid0(VALU_DEP_3) | instskip(SKIP_1) | instid1(VALU_DEP_4)
	v_fma_f64 v[26:27], v[42:43], s[20:21], v[36:37]
	v_fma_f64 v[36:37], v[42:43], s[18:19], v[36:37]
	v_fma_f64 v[24:25], v[40:41], s[14:15], v[24:25]
	s_delay_alu instid0(VALU_DEP_4) | instskip(NEXT) | instid1(VALU_DEP_4)
	v_fma_f64 v[32:33], v[40:41], s[12:13], v[32:33]
	v_fma_f64 v[26:27], v[44:45], s[12:13], v[26:27]
	s_delay_alu instid0(VALU_DEP_4) | instskip(NEXT) | instid1(VALU_DEP_4)
	v_fma_f64 v[36:37], v[44:45], s[14:15], v[36:37]
	v_fma_f64 v[24:25], v[28:29], s[16:17], v[24:25]
	s_delay_alu instid0(VALU_DEP_4) | instskip(SKIP_4) | instid1(VALU_DEP_4)
	v_fma_f64 v[32:33], v[28:29], s[16:17], v[32:33]
	v_add_f64_e32 v[28:29], v[166:167], v[162:163]
	v_fma_f64 v[26:27], v[34:35], s[16:17], v[26:27]
	v_fma_f64 v[34:35], v[34:35], s[16:17], v[36:37]
	v_add_f64_e32 v[36:37], v[160:161], v[152:153]
	v_fma_f64 v[28:29], v[28:29], -0.5, v[4:5]
	v_add_f64_e32 v[4:5], v[4:5], v[168:169]
	s_delay_alu instid0(VALU_DEP_3) | instskip(SKIP_1) | instid1(VALU_DEP_4)
	v_fma_f64 v[36:37], v[36:37], -0.5, v[6:7]
	v_add_f64_e32 v[6:7], v[6:7], v[164:165]
	v_fma_f64 v[54:55], v[40:41], s[20:21], v[28:29]
	s_delay_alu instid0(VALU_DEP_4)
	v_add_f64_e32 v[4:5], v[4:5], v[166:167]
	v_fma_f64 v[28:29], v[40:41], s[18:19], v[28:29]
	v_fma_f64 v[40:41], v[44:45], s[18:19], v[36:37]
	v_add_f64_e32 v[6:7], v[6:7], v[160:161]
	v_fma_f64 v[36:37], v[44:45], s[20:21], v[36:37]
	v_add_f64_e32 v[4:5], v[4:5], v[162:163]
	v_add_f64_e32 v[44:45], v[46:47], v[50:51]
	;; [unrolled: 1-line block ×3, first 2 shown]
	v_fma_f64 v[48:49], v[38:39], s[14:15], v[54:55]
	v_fma_f64 v[28:29], v[38:39], s[12:13], v[28:29]
	;; [unrolled: 1-line block ×3, first 2 shown]
	v_add_f64_e32 v[6:7], v[6:7], v[152:153]
	v_fma_f64 v[42:43], v[42:43], s[14:15], v[36:37]
	v_add_f64_e32 v[4:5], v[4:5], v[154:155]
	v_fma_f64 v[36:37], v[44:45], s[16:17], v[48:49]
	v_fma_f64 v[40:41], v[44:45], s[16:17], v[28:29]
	;; [unrolled: 1-line block ×3, first 2 shown]
	v_add_f64_e32 v[6:7], v[6:7], v[156:157]
	v_fma_f64 v[42:43], v[46:47], s[16:17], v[42:43]
	s_wait_loadcnt 0x0
	ds_store_b128 v9, v[4:7]
	ds_store_b128 v9, v[36:39] offset:400
	ds_store_b128 v9, v[24:27] offset:800
	;; [unrolled: 1-line block ×4, first 2 shown]
	v_add_f64_e64 v[4:5], v[14:15], -v[10:11]
	v_add_f64_e64 v[6:7], v[18:19], -v[20:21]
	;; [unrolled: 1-line block ×6, first 2 shown]
	v_add_f64_e32 v[24:25], v[4:5], v[6:7]
	v_add_f64_e64 v[4:5], v[16:17], -v[30:31]
	v_add_f64_e64 v[6:7], v[12:13], -v[22:23]
	s_delay_alu instid0(VALU_DEP_1) | instskip(SKIP_1) | instid1(VALU_DEP_1)
	v_add_f64_e32 v[26:27], v[4:5], v[6:7]
	v_add_f64_e32 v[4:5], v[10:11], v[20:21]
	v_fma_f64 v[28:29], v[4:5], -0.5, v[0:1]
	v_add_f64_e32 v[4:5], v[30:31], v[22:23]
	s_delay_alu instid0(VALU_DEP_1) | instskip(NEXT) | instid1(VALU_DEP_3)
	v_fma_f64 v[32:33], v[4:5], -0.5, v[2:3]
	v_fma_f64 v[4:5], v[34:35], s[18:19], v[28:29]
	v_fma_f64 v[28:29], v[34:35], s[20:21], v[28:29]
	s_delay_alu instid0(VALU_DEP_3) | instskip(NEXT) | instid1(VALU_DEP_3)
	v_fma_f64 v[6:7], v[38:39], s[20:21], v[32:33]
	v_fma_f64 v[4:5], v[36:37], s[14:15], v[4:5]
	;; [unrolled: 1-line block ×3, first 2 shown]
	s_delay_alu instid0(VALU_DEP_4) | instskip(NEXT) | instid1(VALU_DEP_4)
	v_fma_f64 v[28:29], v[36:37], s[12:13], v[28:29]
	v_fma_f64 v[6:7], v[40:41], s[12:13], v[6:7]
	s_delay_alu instid0(VALU_DEP_4) | instskip(NEXT) | instid1(VALU_DEP_4)
	v_fma_f64 v[4:5], v[24:25], s[16:17], v[4:5]
	v_fma_f64 v[32:33], v[40:41], s[14:15], v[32:33]
	s_delay_alu instid0(VALU_DEP_4) | instskip(SKIP_2) | instid1(VALU_DEP_4)
	v_fma_f64 v[24:25], v[24:25], s[16:17], v[28:29]
	v_add_f64_e32 v[28:29], v[14:15], v[18:19]
	v_fma_f64 v[6:7], v[26:27], s[16:17], v[6:7]
	v_fma_f64 v[26:27], v[26:27], s[16:17], v[32:33]
	v_add_f64_e32 v[32:33], v[16:17], v[12:13]
	s_delay_alu instid0(VALU_DEP_4) | instskip(SKIP_2) | instid1(VALU_DEP_4)
	v_fma_f64 v[28:29], v[28:29], -0.5, v[0:1]
	v_add_f64_e32 v[0:1], v[0:1], v[10:11]
	v_add_f64_e64 v[9:10], v[10:11], -v[14:15]
	v_fma_f64 v[32:33], v[32:33], -0.5, v[2:3]
	v_add_f64_e32 v[2:3], v[2:3], v[30:31]
	s_delay_alu instid0(VALU_DEP_4) | instskip(SKIP_1) | instid1(VALU_DEP_3)
	v_add_f64_e32 v[0:1], v[0:1], v[14:15]
	v_add_f64_e64 v[14:15], v[30:31], -v[16:17]
	v_add_f64_e32 v[2:3], v[2:3], v[16:17]
	s_delay_alu instid0(VALU_DEP_3) | instskip(SKIP_2) | instid1(VALU_DEP_4)
	v_add_f64_e32 v[0:1], v[0:1], v[18:19]
	v_add_f64_e64 v[16:17], v[20:21], -v[18:19]
	v_fma_f64 v[18:19], v[36:37], s[20:21], v[28:29]
	v_add_f64_e32 v[2:3], v[2:3], v[12:13]
	s_delay_alu instid0(VALU_DEP_4)
	v_add_f64_e32 v[0:1], v[0:1], v[20:21]
	v_add_f64_e64 v[11:12], v[22:23], -v[12:13]
	v_fma_f64 v[20:21], v[36:37], s[18:19], v[28:29]
	v_add_f64_e32 v[16:17], v[9:10], v[16:17]
	v_fma_f64 v[9:10], v[34:35], s[14:15], v[18:19]
	v_fma_f64 v[28:29], v[40:41], s[20:21], v[32:33]
	v_add_f64_e32 v[2:3], v[2:3], v[22:23]
	v_fma_f64 v[22:23], v[40:41], s[18:19], v[32:33]
	v_add_f64_e32 v[30:31], v[14:15], v[11:12]
	v_fma_f64 v[13:14], v[34:35], s[12:13], v[20:21]
	v_fma_f64 v[9:10], v[16:17], s[16:17], v[9:10]
	;; [unrolled: 1-line block ×4, first 2 shown]
	s_delay_alu instid0(VALU_DEP_4)
	v_fma_f64 v[13:14], v[16:17], s[16:17], v[13:14]
	scratch_load_b32 v17, off, off offset:1128 th:TH_LOAD_LU ; 4-byte Folded Reload
	v_fma_f64 v[15:16], v[30:31], s[16:17], v[18:19]
	v_fma_f64 v[11:12], v[30:31], s[16:17], v[11:12]
	s_wait_loadcnt 0x0
	ds_store_b128 v17, v[0:3]
	ds_store_b128 v17, v[9:12] offset:400
	ds_store_b128 v17, v[4:7] offset:800
	;; [unrolled: 1-line block ×4, first 2 shown]
	global_wb scope:SCOPE_SE
	s_wait_dscnt 0x0
	s_barrier_signal -1
	s_barrier_wait -1
	global_inv scope:SCOPE_SE
	ds_load_b128 v[0:3], v8 offset:10000
	scratch_load_b128 v[9:12], off, off offset:1332 th:TH_LOAD_LU ; 16-byte Folded Reload
	s_wait_dscnt 0x0
	v_mul_f64_e32 v[4:5], v[242:243], v[2:3]
	s_delay_alu instid0(VALU_DEP_1) | instskip(SKIP_1) | instid1(VALU_DEP_1)
	v_fma_f64 v[13:14], v[240:241], v[0:1], v[4:5]
	v_mul_f64_e32 v[0:1], v[242:243], v[0:1]
	v_fma_f64 v[15:16], v[240:241], v[2:3], -v[0:1]
	ds_load_b128 v[0:3], v8 offset:12000
	s_wait_dscnt 0x0
	v_mul_f64_e32 v[4:5], v[242:243], v[2:3]
	s_delay_alu instid0(VALU_DEP_1) | instskip(SKIP_1) | instid1(VALU_DEP_1)
	v_fma_f64 v[58:59], v[240:241], v[0:1], v[4:5]
	v_mul_f64_e32 v[0:1], v[242:243], v[0:1]
	v_fma_f64 v[70:71], v[240:241], v[2:3], -v[0:1]
	ds_load_b128 v[0:3], v8 offset:20000
	;; [unrolled: 7-line block ×4, first 2 shown]
	s_wait_dscnt 0x0
	v_mul_f64_e32 v[4:5], v[210:211], v[2:3]
	s_delay_alu instid0(VALU_DEP_1) | instskip(SKIP_1) | instid1(VALU_DEP_2)
	v_fma_f64 v[42:43], v[208:209], v[0:1], v[4:5]
	v_mul_f64_e32 v[0:1], v[210:211], v[0:1]
	v_add_f64_e64 v[88:89], v[17:18], -v[42:43]
	s_delay_alu instid0(VALU_DEP_2) | instskip(SKIP_4) | instid1(VALU_DEP_2)
	v_fma_f64 v[44:45], v[208:209], v[2:3], -v[0:1]
	ds_load_b128 v[0:3], v8 offset:32000
	s_wait_dscnt 0x0
	v_mul_f64_e32 v[4:5], v[210:211], v[2:3]
	v_add_f64_e64 v[84:85], v[40:41], -v[44:45]
	v_fma_f64 v[76:77], v[208:209], v[0:1], v[4:5]
	v_mul_f64_e32 v[0:1], v[210:211], v[0:1]
	s_delay_alu instid0(VALU_DEP_2) | instskip(NEXT) | instid1(VALU_DEP_2)
	v_add_f64_e64 v[108:109], v[72:73], -v[76:77]
	v_fma_f64 v[78:79], v[208:209], v[2:3], -v[0:1]
	ds_load_b128 v[0:3], v8 offset:40000
	s_wait_dscnt 0x0
	v_mul_f64_e32 v[4:5], v[230:231], v[2:3]
	s_delay_alu instid0(VALU_DEP_1) | instskip(SKIP_1) | instid1(VALU_DEP_2)
	v_fma_f64 v[46:47], v[228:229], v[0:1], v[4:5]
	v_mul_f64_e32 v[0:1], v[230:231], v[0:1]
	v_add_f64_e64 v[86:87], v[13:14], -v[46:47]
	s_delay_alu instid0(VALU_DEP_2) | instskip(SKIP_4) | instid1(VALU_DEP_2)
	v_fma_f64 v[48:49], v[228:229], v[2:3], -v[0:1]
	ds_load_b128 v[0:3], v8 offset:42000
	s_wait_dscnt 0x0
	v_mul_f64_e32 v[4:5], v[230:231], v[2:3]
	v_add_f64_e64 v[54:55], v[15:16], -v[48:49]
	v_fma_f64 v[80:81], v[228:229], v[0:1], v[4:5]
	v_mul_f64_e32 v[0:1], v[230:231], v[0:1]
	s_delay_alu instid0(VALU_DEP_2) | instskip(NEXT) | instid1(VALU_DEP_2)
	v_add_f64_e64 v[106:107], v[58:59], -v[80:81]
	v_fma_f64 v[82:83], v[228:229], v[2:3], -v[0:1]
	ds_load_b128 v[0:3], v8 offset:14000
	s_wait_loadcnt_dscnt 0x0
	v_mul_f64_e32 v[4:5], v[11:12], v[2:3]
	s_delay_alu instid0(VALU_DEP_1) | instskip(SKIP_1) | instid1(VALU_DEP_1)
	v_fma_f64 v[90:91], v[9:10], v[0:1], v[4:5]
	v_mul_f64_e32 v[0:1], v[11:12], v[0:1]
	v_fma_f64 v[92:93], v[9:10], v[2:3], -v[0:1]
	scratch_load_b128 v[9:12], off, off offset:1348 th:TH_LOAD_LU ; 16-byte Folded Reload
	ds_load_b128 v[0:3], v8 offset:24000
	s_wait_loadcnt_dscnt 0x0
	v_mul_f64_e32 v[4:5], v[11:12], v[2:3]
	s_delay_alu instid0(VALU_DEP_1) | instskip(SKIP_1) | instid1(VALU_DEP_1)
	v_fma_f64 v[94:95], v[9:10], v[0:1], v[4:5]
	v_mul_f64_e32 v[0:1], v[11:12], v[0:1]
	v_fma_f64 v[96:97], v[9:10], v[2:3], -v[0:1]
	scratch_load_b128 v[9:12], off, off offset:1364 th:TH_LOAD_LU ; 16-byte Folded Reload
	ds_load_b128 v[0:3], v8 offset:34000
	s_wait_loadcnt_dscnt 0x0
	v_mul_f64_e32 v[4:5], v[11:12], v[2:3]
	s_delay_alu instid0(VALU_DEP_1) | instskip(SKIP_1) | instid1(VALU_DEP_2)
	v_fma_f64 v[98:99], v[9:10], v[0:1], v[4:5]
	v_mul_f64_e32 v[0:1], v[11:12], v[0:1]
	v_add_f64_e64 v[110:111], v[94:95], -v[98:99]
	s_delay_alu instid0(VALU_DEP_2) | instskip(SKIP_4) | instid1(VALU_DEP_1)
	v_fma_f64 v[100:101], v[9:10], v[2:3], -v[0:1]
	scratch_load_b128 v[9:12], off, off offset:1380 th:TH_LOAD_LU ; 16-byte Folded Reload
	ds_load_b128 v[0:3], v8 offset:44000
	s_wait_loadcnt_dscnt 0x0
	v_mul_f64_e32 v[4:5], v[11:12], v[2:3]
	v_fma_f64 v[102:103], v[9:10], v[0:1], v[4:5]
	v_mul_f64_e32 v[0:1], v[11:12], v[0:1]
	s_delay_alu instid0(VALU_DEP_2) | instskip(NEXT) | instid1(VALU_DEP_2)
	v_add_f64_e64 v[112:113], v[90:91], -v[102:103]
	v_fma_f64 v[104:105], v[9:10], v[2:3], -v[0:1]
	scratch_load_b128 v[9:12], off, off offset:1424 th:TH_LOAD_LU ; 16-byte Folded Reload
	ds_load_b128 v[0:3], v8 offset:16000
	s_wait_loadcnt_dscnt 0x0
	v_mul_f64_e32 v[4:5], v[11:12], v[2:3]
	s_delay_alu instid0(VALU_DEP_1) | instskip(SKIP_1) | instid1(VALU_DEP_1)
	v_fma_f64 v[38:39], v[9:10], v[0:1], v[4:5]
	v_mul_f64_e32 v[0:1], v[11:12], v[0:1]
	v_fma_f64 v[36:37], v[9:10], v[2:3], -v[0:1]
	scratch_load_b128 v[9:12], off, off offset:1440 th:TH_LOAD_LU ; 16-byte Folded Reload
	ds_load_b128 v[0:3], v8 offset:26000
	s_wait_loadcnt_dscnt 0x0
	v_mul_f64_e32 v[4:5], v[11:12], v[2:3]
	s_delay_alu instid0(VALU_DEP_1) | instskip(SKIP_1) | instid1(VALU_DEP_1)
	v_fma_f64 v[68:69], v[9:10], v[0:1], v[4:5]
	v_mul_f64_e32 v[0:1], v[11:12], v[0:1]
	;; [unrolled: 8-line block ×5, first 2 shown]
	v_fma_f64 v[20:21], v[9:10], v[2:3], -v[0:1]
	ds_load_b128 v[0:3], v8 offset:28000
	ds_load_b128 v[9:12], v8
	s_wait_dscnt 0x1
	v_mul_f64_e32 v[4:5], v[254:255], v[2:3]
	s_delay_alu instid0(VALU_DEP_1) | instskip(SKIP_1) | instid1(VALU_DEP_1)
	v_fma_f64 v[26:27], v[252:253], v[0:1], v[4:5]
	v_mul_f64_e32 v[0:1], v[254:255], v[0:1]
	v_fma_f64 v[28:29], v[252:253], v[2:3], -v[0:1]
	ds_load_b128 v[0:3], v8 offset:38000
	s_wait_dscnt 0x0
	v_mul_f64_e32 v[4:5], v[250:251], v[2:3]
	s_delay_alu instid0(VALU_DEP_1) | instskip(SKIP_1) | instid1(VALU_DEP_1)
	v_fma_f64 v[30:31], v[248:249], v[0:1], v[4:5]
	v_mul_f64_e32 v[0:1], v[250:251], v[0:1]
	v_fma_f64 v[24:25], v[248:249], v[2:3], -v[0:1]
	ds_load_b128 v[0:3], v8 offset:48000
	s_wait_dscnt 0x0
	v_mul_f64_e32 v[4:5], v[246:247], v[2:3]
	s_delay_alu instid0(VALU_DEP_1) | instskip(SKIP_1) | instid1(VALU_DEP_1)
	v_fma_f64 v[32:33], v[244:245], v[0:1], v[4:5]
	v_mul_f64_e32 v[0:1], v[246:247], v[0:1]
	v_fma_f64 v[34:35], v[244:245], v[2:3], -v[0:1]
	v_add_f64_e64 v[0:1], v[13:14], -v[17:18]
	v_add_f64_e64 v[2:3], v[46:47], -v[42:43]
	s_delay_alu instid0(VALU_DEP_1) | instskip(SKIP_2) | instid1(VALU_DEP_1)
	v_add_f64_e32 v[4:5], v[0:1], v[2:3]
	v_add_f64_e64 v[0:1], v[15:16], -v[40:41]
	v_add_f64_e64 v[2:3], v[48:49], -v[44:45]
	v_add_f64_e32 v[6:7], v[0:1], v[2:3]
	v_add_f64_e32 v[0:1], v[17:18], v[42:43]
	s_delay_alu instid0(VALU_DEP_1) | instskip(SKIP_1) | instid1(VALU_DEP_1)
	v_fma_f64 v[50:51], v[0:1], -0.5, v[9:10]
	v_add_f64_e32 v[0:1], v[40:41], v[44:45]
	v_fma_f64 v[52:53], v[0:1], -0.5, v[11:12]
	s_delay_alu instid0(VALU_DEP_3) | instskip(SKIP_1) | instid1(VALU_DEP_3)
	v_fma_f64 v[0:1], v[54:55], s[20:21], v[50:51]
	v_fma_f64 v[50:51], v[54:55], s[18:19], v[50:51]
	;; [unrolled: 1-line block ×4, first 2 shown]
	s_delay_alu instid0(VALU_DEP_4) | instskip(NEXT) | instid1(VALU_DEP_4)
	v_fma_f64 v[0:1], v[84:85], s[14:15], v[0:1]
	v_fma_f64 v[50:51], v[84:85], s[12:13], v[50:51]
	s_delay_alu instid0(VALU_DEP_4) | instskip(NEXT) | instid1(VALU_DEP_4)
	v_fma_f64 v[2:3], v[88:89], s[12:13], v[2:3]
	v_fma_f64 v[52:53], v[88:89], s[14:15], v[52:53]
	;; [unrolled: 3-line block ×3, first 2 shown]
	v_add_f64_e32 v[50:51], v[13:14], v[46:47]
	v_fma_f64 v[2:3], v[6:7], s[16:17], v[2:3]
	v_fma_f64 v[6:7], v[6:7], s[16:17], v[52:53]
	v_add_f64_e32 v[52:53], v[15:16], v[48:49]
	s_delay_alu instid0(VALU_DEP_4) | instskip(SKIP_2) | instid1(VALU_DEP_4)
	v_fma_f64 v[50:51], v[50:51], -0.5, v[9:10]
	v_add_f64_e32 v[9:10], v[9:10], v[13:14]
	v_add_f64_e64 v[13:14], v[17:18], -v[13:14]
	v_fma_f64 v[52:53], v[52:53], -0.5, v[11:12]
	v_add_f64_e32 v[11:12], v[11:12], v[15:16]
	s_delay_alu instid0(VALU_DEP_4) | instskip(NEXT) | instid1(VALU_DEP_2)
	v_add_f64_e32 v[9:10], v[9:10], v[17:18]
	v_add_f64_e32 v[11:12], v[11:12], v[40:41]
	v_add_f64_e64 v[40:41], v[40:41], -v[15:16]
	s_delay_alu instid0(VALU_DEP_3) | instskip(SKIP_1) | instid1(VALU_DEP_4)
	v_add_f64_e32 v[9:10], v[9:10], v[42:43]
	v_add_f64_e64 v[42:43], v[42:43], -v[46:47]
	v_add_f64_e32 v[11:12], v[11:12], v[44:45]
	s_delay_alu instid0(VALU_DEP_3)
	v_add_f64_e32 v[16:17], v[9:10], v[46:47]
	v_add_f64_e64 v[9:10], v[44:45], -v[48:49]
	v_fma_f64 v[44:45], v[84:85], s[20:21], v[50:51]
	v_fma_f64 v[46:47], v[88:89], s[20:21], v[52:53]
	v_add_f64_e32 v[13:14], v[13:14], v[42:43]
	v_add_f64_e32 v[18:19], v[11:12], v[48:49]
	v_fma_f64 v[11:12], v[84:85], s[18:19], v[50:51]
	v_fma_f64 v[48:49], v[88:89], s[18:19], v[52:53]
	v_add_f64_e32 v[9:10], v[40:41], v[9:10]
	v_fma_f64 v[44:45], v[54:55], s[12:13], v[44:45]
	v_fma_f64 v[42:43], v[86:87], s[12:13], v[46:47]
	v_add_f64_e64 v[88:89], v[74:75], -v[78:79]
	v_fma_f64 v[11:12], v[54:55], s[14:15], v[11:12]
	v_fma_f64 v[46:47], v[86:87], s[14:15], v[48:49]
	v_add_f64_e32 v[48:49], v[72:73], v[76:77]
	v_add_f64_e64 v[86:87], v[70:71], -v[82:83]
	v_fma_f64 v[42:43], v[9:10], s[16:17], v[42:43]
	v_fma_f64 v[40:41], v[13:14], s[16:17], v[11:12]
	v_fma_f64 v[12:13], v[13:14], s[16:17], v[44:45]
	v_fma_f64 v[14:15], v[9:10], s[16:17], v[46:47]
	v_add_f64_e64 v[9:10], v[58:59], -v[72:73]
	v_add_f64_e64 v[44:45], v[80:81], -v[76:77]
	;; [unrolled: 1-line block ×3, first 2 shown]
	s_delay_alu instid0(VALU_DEP_2) | instskip(SKIP_1) | instid1(VALU_DEP_1)
	v_add_f64_e32 v[9:10], v[9:10], v[44:45]
	v_add_f64_e64 v[44:45], v[70:71], -v[74:75]
	v_add_f64_e32 v[54:55], v[44:45], v[46:47]
	ds_load_b128 v[44:47], v8 offset:2000
	s_wait_dscnt 0x0
	v_fma_f64 v[52:53], v[48:49], -0.5, v[44:45]
	v_add_f64_e32 v[48:49], v[74:75], v[78:79]
	s_delay_alu instid0(VALU_DEP_1) | instskip(NEXT) | instid1(VALU_DEP_3)
	v_fma_f64 v[84:85], v[48:49], -0.5, v[46:47]
	v_fma_f64 v[48:49], v[86:87], s[20:21], v[52:53]
	v_fma_f64 v[52:53], v[86:87], s[18:19], v[52:53]
	s_delay_alu instid0(VALU_DEP_3) | instskip(SKIP_1) | instid1(VALU_DEP_4)
	v_fma_f64 v[50:51], v[106:107], s[18:19], v[84:85]
	v_fma_f64 v[84:85], v[106:107], s[20:21], v[84:85]
	;; [unrolled: 1-line block ×3, first 2 shown]
	s_delay_alu instid0(VALU_DEP_4) | instskip(NEXT) | instid1(VALU_DEP_4)
	v_fma_f64 v[52:53], v[88:89], s[12:13], v[52:53]
	v_fma_f64 v[50:51], v[108:109], s[12:13], v[50:51]
	s_delay_alu instid0(VALU_DEP_4) | instskip(NEXT) | instid1(VALU_DEP_4)
	v_fma_f64 v[84:85], v[108:109], s[14:15], v[84:85]
	v_fma_f64 v[48:49], v[9:10], s[16:17], v[48:49]
	s_delay_alu instid0(VALU_DEP_4) | instskip(SKIP_4) | instid1(VALU_DEP_4)
	v_fma_f64 v[52:53], v[9:10], s[16:17], v[52:53]
	v_add_f64_e32 v[9:10], v[58:59], v[80:81]
	v_fma_f64 v[50:51], v[54:55], s[16:17], v[50:51]
	v_fma_f64 v[54:55], v[54:55], s[16:17], v[84:85]
	v_add_f64_e32 v[84:85], v[70:71], v[82:83]
	v_fma_f64 v[9:10], v[9:10], -0.5, v[44:45]
	v_add_f64_e32 v[44:45], v[44:45], v[58:59]
	v_add_f64_e64 v[58:59], v[72:73], -v[58:59]
	s_delay_alu instid0(VALU_DEP_4) | instskip(SKIP_4) | instid1(VALU_DEP_4)
	v_fma_f64 v[84:85], v[84:85], -0.5, v[46:47]
	v_add_f64_e32 v[46:47], v[46:47], v[70:71]
	v_add_f64_e64 v[70:71], v[74:75], -v[70:71]
	v_add_f64_e32 v[44:45], v[44:45], v[72:73]
	v_add_f64_e64 v[72:73], v[76:77], -v[80:81]
	;; [unrolled: 2-line block ×3, first 2 shown]
	s_delay_alu instid0(VALU_DEP_4)
	v_add_f64_e32 v[44:45], v[44:45], v[76:77]
	v_fma_f64 v[76:77], v[88:89], s[18:19], v[9:10]
	v_fma_f64 v[9:10], v[88:89], s[20:21], v[9:10]
	v_add_f64_e32 v[58:59], v[58:59], v[72:73]
	v_add_f64_e32 v[46:47], v[46:47], v[78:79]
	v_fma_f64 v[78:79], v[108:109], s[20:21], v[84:85]
	v_add_f64_e32 v[44:45], v[44:45], v[80:81]
	v_fma_f64 v[80:81], v[108:109], s[18:19], v[84:85]
	v_fma_f64 v[9:10], v[86:87], s[12:13], v[9:10]
	v_add_f64_e64 v[108:109], v[92:93], -v[104:105]
	v_add_f64_e32 v[46:47], v[46:47], v[82:83]
	v_add_f64_e32 v[82:83], v[70:71], v[74:75]
	v_fma_f64 v[70:71], v[86:87], s[14:15], v[76:77]
	v_fma_f64 v[72:73], v[106:107], s[12:13], v[78:79]
	;; [unrolled: 1-line block ×3, first 2 shown]
	v_add_f64_e64 v[9:10], v[94:95], -v[90:91]
	v_fma_f64 v[76:77], v[106:107], s[14:15], v[80:81]
	v_add_f64_e64 v[78:79], v[100:101], -v[104:105]
	v_add_f64_e64 v[106:107], v[96:97], -v[100:101]
	v_fma_f64 v[70:71], v[58:59], s[16:17], v[70:71]
	v_add_f64_e64 v[58:59], v[98:99], -v[102:103]
	v_fma_f64 v[72:73], v[82:83], s[16:17], v[72:73]
	v_fma_f64 v[76:77], v[82:83], s[16:17], v[76:77]
	v_add_f64_e32 v[82:83], v[90:91], v[102:103]
	s_delay_alu instid0(VALU_DEP_4) | instskip(SKIP_1) | instid1(VALU_DEP_1)
	v_add_f64_e32 v[9:10], v[9:10], v[58:59]
	v_add_f64_e64 v[58:59], v[96:97], -v[92:93]
	v_add_f64_e32 v[58:59], v[58:59], v[78:79]
	ds_load_b128 v[78:81], v8 offset:4000
	s_wait_dscnt 0x0
	v_fma_f64 v[86:87], v[82:83], -0.5, v[78:79]
	v_add_f64_e32 v[82:83], v[92:93], v[104:105]
	s_delay_alu instid0(VALU_DEP_1) | instskip(NEXT) | instid1(VALU_DEP_3)
	v_fma_f64 v[88:89], v[82:83], -0.5, v[80:81]
	v_fma_f64 v[82:83], v[106:107], s[18:19], v[86:87]
	v_fma_f64 v[86:87], v[106:107], s[20:21], v[86:87]
	s_delay_alu instid0(VALU_DEP_3) | instskip(SKIP_1) | instid1(VALU_DEP_4)
	v_fma_f64 v[84:85], v[110:111], s[20:21], v[88:89]
	v_fma_f64 v[88:89], v[110:111], s[18:19], v[88:89]
	;; [unrolled: 1-line block ×3, first 2 shown]
	s_delay_alu instid0(VALU_DEP_4) | instskip(NEXT) | instid1(VALU_DEP_4)
	v_fma_f64 v[86:87], v[108:109], s[12:13], v[86:87]
	v_fma_f64 v[84:85], v[112:113], s[12:13], v[84:85]
	s_delay_alu instid0(VALU_DEP_4) | instskip(NEXT) | instid1(VALU_DEP_4)
	v_fma_f64 v[88:89], v[112:113], s[14:15], v[88:89]
	v_fma_f64 v[82:83], v[9:10], s[16:17], v[82:83]
	s_delay_alu instid0(VALU_DEP_4) | instskip(SKIP_4) | instid1(VALU_DEP_4)
	v_fma_f64 v[86:87], v[9:10], s[16:17], v[86:87]
	v_add_f64_e32 v[9:10], v[94:95], v[98:99]
	v_fma_f64 v[84:85], v[58:59], s[16:17], v[84:85]
	v_fma_f64 v[88:89], v[58:59], s[16:17], v[88:89]
	v_add_f64_e32 v[58:59], v[96:97], v[100:101]
	v_fma_f64 v[9:10], v[9:10], -0.5, v[78:79]
	v_add_f64_e32 v[78:79], v[78:79], v[90:91]
	v_add_f64_e64 v[90:91], v[90:91], -v[94:95]
	s_delay_alu instid0(VALU_DEP_4) | instskip(SKIP_4) | instid1(VALU_DEP_4)
	v_fma_f64 v[58:59], v[58:59], -0.5, v[80:81]
	v_add_f64_e32 v[80:81], v[80:81], v[92:93]
	v_add_f64_e64 v[92:93], v[92:93], -v[96:97]
	v_add_f64_e32 v[78:79], v[78:79], v[94:95]
	v_add_f64_e64 v[94:95], v[102:103], -v[98:99]
	;; [unrolled: 2-line block ×3, first 2 shown]
	s_delay_alu instid0(VALU_DEP_4)
	v_add_f64_e32 v[78:79], v[78:79], v[98:99]
	v_fma_f64 v[98:99], v[108:109], s[20:21], v[9:10]
	v_add_f64_e32 v[94:95], v[90:91], v[94:95]
	v_fma_f64 v[9:10], v[108:109], s[18:19], v[9:10]
	;; [unrolled: 2-line block ×3, first 2 shown]
	v_add_f64_e32 v[78:79], v[78:79], v[102:103]
	v_add_f64_e32 v[96:97], v[92:93], v[96:97]
	v_fma_f64 v[90:91], v[106:107], s[14:15], v[98:99]
	v_fma_f64 v[58:59], v[112:113], s[20:21], v[58:59]
	v_fma_f64 v[9:10], v[106:107], s[12:13], v[9:10]
	v_add_f64_e32 v[80:81], v[80:81], v[104:105]
	v_fma_f64 v[92:93], v[110:111], s[12:13], v[100:101]
	ds_load_b128 v[98:101], v8 offset:8000
	ds_load_b128 v[102:105], v8 offset:6000
	global_wb scope:SCOPE_SE
	s_wait_dscnt 0x0
	s_barrier_signal -1
	s_barrier_wait -1
	global_inv scope:SCOPE_SE
	ds_store_b128 v8, v[16:19]
	ds_store_b128 v8, v[44:47] offset:10000
	ds_store_b128 v8, v[0:3] offset:2000
	;; [unrolled: 1-line block ×9, first 2 shown]
	scratch_load_b32 v0, off, off offset:1488 th:TH_LOAD_LU ; 4-byte Folded Reload
	v_fma_f64 v[58:59], v[110:111], s[14:15], v[58:59]
	v_fma_f64 v[90:91], v[94:95], s[16:17], v[90:91]
	;; [unrolled: 1-line block ×3, first 2 shown]
	v_add_f64_e64 v[2:3], v[66:67], -v[62:63]
	v_add_f64_e64 v[13:14], v[64:65], -v[60:61]
	;; [unrolled: 1-line block ×7, first 2 shown]
	v_fma_f64 v[92:93], v[96:97], s[16:17], v[92:93]
	v_fma_f64 v[96:97], v[96:97], s[16:17], v[58:59]
	s_wait_loadcnt 0x0
	ds_store_b128 v0, v[78:81] offset:20000
	ds_store_b128 v0, v[90:93] offset:22000
	;; [unrolled: 1-line block ×5, first 2 shown]
	v_add_f64_e64 v[0:1], v[68:69], -v[38:39]
	s_delay_alu instid0(VALU_DEP_1) | instskip(SKIP_2) | instid1(VALU_DEP_1)
	v_add_f64_e32 v[4:5], v[0:1], v[2:3]
	v_add_f64_e64 v[0:1], v[64:65], -v[36:37]
	v_add_f64_e64 v[2:3], v[60:61], -v[56:57]
	v_add_f64_e32 v[6:7], v[0:1], v[2:3]
	v_add_f64_e32 v[0:1], v[38:39], v[62:63]
	s_delay_alu instid0(VALU_DEP_1) | instskip(SKIP_1) | instid1(VALU_DEP_1)
	v_fma_f64 v[9:10], v[0:1], -0.5, v[102:103]
	v_add_f64_e32 v[0:1], v[36:37], v[56:57]
	v_fma_f64 v[11:12], v[0:1], -0.5, v[104:105]
	s_delay_alu instid0(VALU_DEP_3) | instskip(SKIP_1) | instid1(VALU_DEP_3)
	v_fma_f64 v[0:1], v[13:14], s[18:19], v[9:10]
	v_fma_f64 v[9:10], v[13:14], s[20:21], v[9:10]
	;; [unrolled: 1-line block ×3, first 2 shown]
	s_delay_alu instid0(VALU_DEP_3) | instskip(NEXT) | instid1(VALU_DEP_3)
	v_fma_f64 v[0:1], v[15:16], s[14:15], v[0:1]
	v_fma_f64 v[9:10], v[15:16], s[12:13], v[9:10]
	;; [unrolled: 1-line block ×3, first 2 shown]
	s_delay_alu instid0(VALU_DEP_4) | instskip(NEXT) | instid1(VALU_DEP_4)
	v_fma_f64 v[2:3], v[40:41], s[12:13], v[2:3]
	v_fma_f64 v[0:1], v[4:5], s[16:17], v[0:1]
	s_delay_alu instid0(VALU_DEP_4) | instskip(SKIP_3) | instid1(VALU_DEP_3)
	v_fma_f64 v[4:5], v[4:5], s[16:17], v[9:10]
	v_add_f64_e32 v[9:10], v[68:69], v[66:67]
	v_fma_f64 v[11:12], v[40:41], s[14:15], v[11:12]
	v_fma_f64 v[2:3], v[6:7], s[16:17], v[2:3]
	v_fma_f64 v[42:43], v[9:10], -0.5, v[102:103]
	v_add_f64_e32 v[9:10], v[64:65], v[60:61]
	s_delay_alu instid0(VALU_DEP_4)
	v_fma_f64 v[6:7], v[6:7], s[16:17], v[11:12]
	v_add_f64_e32 v[11:12], v[104:105], v[36:37]
	v_add_f64_e64 v[36:37], v[36:37], -v[64:65]
	v_fma_f64 v[50:51], v[15:16], s[20:21], v[42:43]
	v_fma_f64 v[44:45], v[9:10], -0.5, v[104:105]
	v_add_f64_e32 v[9:10], v[102:103], v[38:39]
	v_add_f64_e64 v[38:39], v[38:39], -v[68:69]
	v_fma_f64 v[15:16], v[15:16], s[18:19], v[42:43]
	v_add_f64_e32 v[11:12], v[11:12], v[64:65]
	v_fma_f64 v[42:43], v[40:41], s[18:19], v[44:45]
	v_fma_f64 v[40:41], v[40:41], s[20:21], v[44:45]
	v_add_f64_e32 v[38:39], v[38:39], v[46:47]
	v_add_f64_e32 v[44:45], v[36:37], v[48:49]
	v_fma_f64 v[36:37], v[13:14], s[14:15], v[50:51]
	v_fma_f64 v[46:47], v[13:14], s[12:13], v[15:16]
	v_add_f64_e32 v[9:10], v[9:10], v[68:69]
	v_add_f64_e32 v[11:12], v[11:12], v[60:61]
	v_fma_f64 v[15:16], v[17:18], s[12:13], v[42:43]
	v_fma_f64 v[17:18], v[17:18], s[14:15], v[40:41]
	;; [unrolled: 1-line block ×4, first 2 shown]
	v_add_f64_e32 v[9:10], v[9:10], v[66:67]
	v_add_f64_e32 v[11:12], v[11:12], v[56:57]
	v_fma_f64 v[15:16], v[44:45], s[16:17], v[15:16]
	v_fma_f64 v[38:39], v[44:45], s[16:17], v[17:18]
	scratch_load_b32 v17, off, off offset:1396 th:TH_LOAD_LU ; 4-byte Folded Reload
	v_add_f64_e32 v[9:10], v[9:10], v[62:63]
	s_wait_loadcnt 0x0
	ds_store_b128 v17, v[9:12] offset:30000
	ds_store_b128 v17, v[13:16] offset:32000
	;; [unrolled: 1-line block ×5, first 2 shown]
	v_add_f64_e64 v[0:1], v[26:27], -v[22:23]
	v_add_f64_e64 v[2:3], v[30:31], -v[32:33]
	;; [unrolled: 1-line block ×6, first 2 shown]
	v_add_f64_e32 v[4:5], v[0:1], v[2:3]
	v_add_f64_e64 v[0:1], v[28:29], -v[20:21]
	v_add_f64_e64 v[2:3], v[24:25], -v[34:35]
	s_delay_alu instid0(VALU_DEP_1) | instskip(SKIP_1) | instid1(VALU_DEP_1)
	v_add_f64_e32 v[6:7], v[0:1], v[2:3]
	v_add_f64_e32 v[0:1], v[22:23], v[32:33]
	v_fma_f64 v[9:10], v[0:1], -0.5, v[98:99]
	v_add_f64_e32 v[0:1], v[20:21], v[34:35]
	s_delay_alu instid0(VALU_DEP_1) | instskip(NEXT) | instid1(VALU_DEP_3)
	v_fma_f64 v[11:12], v[0:1], -0.5, v[100:101]
	v_fma_f64 v[0:1], v[13:14], s[18:19], v[9:10]
	v_fma_f64 v[9:10], v[13:14], s[20:21], v[9:10]
	s_delay_alu instid0(VALU_DEP_3) | instskip(NEXT) | instid1(VALU_DEP_3)
	v_fma_f64 v[2:3], v[17:18], s[20:21], v[11:12]
	v_fma_f64 v[0:1], v[15:16], s[14:15], v[0:1]
	s_delay_alu instid0(VALU_DEP_3) | instskip(SKIP_1) | instid1(VALU_DEP_4)
	v_fma_f64 v[9:10], v[15:16], s[12:13], v[9:10]
	v_fma_f64 v[11:12], v[17:18], s[18:19], v[11:12]
	;; [unrolled: 1-line block ×3, first 2 shown]
	s_delay_alu instid0(VALU_DEP_4) | instskip(NEXT) | instid1(VALU_DEP_4)
	v_fma_f64 v[0:1], v[4:5], s[16:17], v[0:1]
	v_fma_f64 v[4:5], v[4:5], s[16:17], v[9:10]
	v_add_f64_e32 v[9:10], v[26:27], v[30:31]
	v_fma_f64 v[11:12], v[36:37], s[14:15], v[11:12]
	v_fma_f64 v[2:3], v[6:7], s[16:17], v[2:3]
	s_delay_alu instid0(VALU_DEP_3) | instskip(SKIP_1) | instid1(VALU_DEP_4)
	v_fma_f64 v[38:39], v[9:10], -0.5, v[98:99]
	v_add_f64_e32 v[9:10], v[28:29], v[24:25]
	v_fma_f64 v[6:7], v[6:7], s[16:17], v[11:12]
	v_add_f64_e32 v[11:12], v[100:101], v[20:21]
	v_add_f64_e64 v[19:20], v[20:21], -v[28:29]
	s_delay_alu instid0(VALU_DEP_4) | instskip(SKIP_1) | instid1(VALU_DEP_4)
	v_fma_f64 v[40:41], v[9:10], -0.5, v[100:101]
	v_add_f64_e32 v[9:10], v[98:99], v[22:23]
	v_add_f64_e32 v[11:12], v[11:12], v[28:29]
	v_add_f64_e64 v[22:23], v[22:23], -v[26:27]
	v_fma_f64 v[28:29], v[15:16], s[20:21], v[38:39]
	v_fma_f64 v[15:16], v[15:16], s[18:19], v[38:39]
	v_add_f64_e32 v[9:10], v[9:10], v[26:27]
	v_add_f64_e32 v[11:12], v[11:12], v[24:25]
	v_add_f64_e64 v[26:27], v[32:33], -v[30:31]
	v_add_f64_e64 v[24:25], v[34:35], -v[24:25]
	s_delay_alu instid0(VALU_DEP_4) | instskip(SKIP_1) | instid1(VALU_DEP_4)
	v_add_f64_e32 v[9:10], v[9:10], v[30:31]
	v_fma_f64 v[30:31], v[36:37], s[18:19], v[40:41]
	v_add_f64_e32 v[21:22], v[22:23], v[26:27]
	s_delay_alu instid0(VALU_DEP_4)
	v_add_f64_e32 v[19:20], v[19:20], v[24:25]
	v_fma_f64 v[23:24], v[13:14], s[14:15], v[28:29]
	v_fma_f64 v[25:26], v[13:14], s[12:13], v[15:16]
	v_add_f64_e32 v[11:12], v[11:12], v[34:35]
	v_add_f64_e32 v[9:10], v[9:10], v[32:33]
	v_fma_f64 v[32:33], v[36:37], s[20:21], v[40:41]
	v_fma_f64 v[15:16], v[17:18], s[12:13], v[30:31]
	;; [unrolled: 1-line block ×3, first 2 shown]
	s_delay_alu instid0(VALU_DEP_3) | instskip(NEXT) | instid1(VALU_DEP_3)
	v_fma_f64 v[27:28], v[17:18], s[14:15], v[32:33]
	v_fma_f64 v[15:16], v[19:20], s[16:17], v[15:16]
	;; [unrolled: 1-line block ×3, first 2 shown]
	s_delay_alu instid0(VALU_DEP_3)
	v_fma_f64 v[19:20], v[19:20], s[16:17], v[27:28]
	ds_store_b128 v135, v[9:12] offset:40000
	ds_store_b128 v135, v[13:16] offset:42000
	;; [unrolled: 1-line block ×5, first 2 shown]
	global_wb scope:SCOPE_SE
	s_wait_dscnt 0x0
	s_barrier_signal -1
	s_barrier_wait -1
	global_inv scope:SCOPE_SE
	s_clause 0x1
	scratch_load_b128 v[9:12], off, off offset:1296 th:TH_LOAD_LU
	scratch_load_b128 v[54:57], off, off offset:1404 th:TH_LOAD_LU
	ds_load_b128 v[0:3], v8 offset:10000
	s_clause 0x3
	scratch_load_b128 v[66:69], off, off offset:444 th:TH_LOAD_LU
	scratch_load_b128 v[72:75], off, off offset:428 th:TH_LOAD_LU
	;; [unrolled: 1-line block ×4, first 2 shown]
	s_wait_loadcnt_dscnt 0x500
	v_mul_f64_e32 v[4:5], v[11:12], v[2:3]
	s_delay_alu instid0(VALU_DEP_1) | instskip(SKIP_4) | instid1(VALU_DEP_1)
	v_fma_f64 v[34:35], v[9:10], v[0:1], v[4:5]
	v_dual_mov_b32 v4, v9 :: v_dual_mov_b32 v5, v10
	v_dual_mov_b32 v6, v11 :: v_dual_mov_b32 v7, v12
	scratch_load_b128 v[9:12], off, off offset:1168 th:TH_LOAD_LU ; 16-byte Folded Reload
	v_mul_f64_e32 v[0:1], v[6:7], v[0:1]
	v_fma_f64 v[32:33], v[4:5], v[2:3], -v[0:1]
	ds_load_b128 v[0:3], v8 offset:20000
	s_wait_loadcnt_dscnt 0x0
	v_mul_f64_e32 v[4:5], v[11:12], v[2:3]
	s_delay_alu instid0(VALU_DEP_1) | instskip(SKIP_1) | instid1(VALU_DEP_2)
	v_fma_f64 v[40:41], v[9:10], v[0:1], v[4:5]
	v_mul_f64_e32 v[0:1], v[11:12], v[0:1]
	v_add_f64_e64 v[106:107], v[40:41], -v[34:35]
	s_delay_alu instid0(VALU_DEP_2) | instskip(SKIP_4) | instid1(VALU_DEP_1)
	v_fma_f64 v[42:43], v[9:10], v[2:3], -v[0:1]
	scratch_load_b128 v[9:12], off, off offset:1152 th:TH_LOAD_LU ; 16-byte Folded Reload
	ds_load_b128 v[0:3], v8 offset:30000
	s_wait_loadcnt_dscnt 0x0
	v_mul_f64_e32 v[4:5], v[11:12], v[2:3]
	v_fma_f64 v[46:47], v[9:10], v[0:1], v[4:5]
	v_mul_f64_e32 v[0:1], v[11:12], v[0:1]
	s_delay_alu instid0(VALU_DEP_2) | instskip(NEXT) | instid1(VALU_DEP_2)
	v_add_f64_e64 v[104:105], v[40:41], -v[46:47]
	v_fma_f64 v[44:45], v[9:10], v[2:3], -v[0:1]
	scratch_load_b128 v[9:12], off, off offset:1136 th:TH_LOAD_LU ; 16-byte Folded Reload
	ds_load_b128 v[0:3], v8 offset:40000
	v_add_f64_e64 v[100:101], v[42:43], -v[44:45]
	s_wait_loadcnt_dscnt 0x0
	v_mul_f64_e32 v[4:5], v[11:12], v[2:3]
	s_delay_alu instid0(VALU_DEP_1) | instskip(SKIP_1) | instid1(VALU_DEP_2)
	v_fma_f64 v[48:49], v[9:10], v[0:1], v[4:5]
	v_mul_f64_e32 v[0:1], v[11:12], v[0:1]
	v_add_f64_e64 v[102:103], v[34:35], -v[48:49]
	s_delay_alu instid0(VALU_DEP_2)
	v_fma_f64 v[50:51], v[9:10], v[2:3], -v[0:1]
	scratch_load_b128 v[9:12], off, off offset:1312 th:TH_LOAD_LU ; 16-byte Folded Reload
	ds_load_b128 v[0:3], v8 offset:12000
	v_add_f64_e64 v[98:99], v[32:33], -v[50:51]
	s_wait_loadcnt_dscnt 0x0
	v_mul_f64_e32 v[4:5], v[11:12], v[2:3]
	s_delay_alu instid0(VALU_DEP_1) | instskip(SKIP_1) | instid1(VALU_DEP_1)
	v_fma_f64 v[18:19], v[9:10], v[0:1], v[4:5]
	v_mul_f64_e32 v[0:1], v[11:12], v[0:1]
	v_fma_f64 v[16:17], v[9:10], v[2:3], -v[0:1]
	scratch_load_b128 v[9:12], off, off offset:1280 th:TH_LOAD_LU ; 16-byte Folded Reload
	ds_load_b128 v[0:3], v8 offset:22000
	s_wait_loadcnt_dscnt 0x0
	v_mul_f64_e32 v[4:5], v[11:12], v[2:3]
	s_delay_alu instid0(VALU_DEP_1) | instskip(SKIP_1) | instid1(VALU_DEP_2)
	v_fma_f64 v[24:25], v[9:10], v[0:1], v[4:5]
	v_mul_f64_e32 v[0:1], v[11:12], v[0:1]
	v_add_f64_e64 v[110:111], v[24:25], -v[18:19]
	s_delay_alu instid0(VALU_DEP_2) | instskip(SKIP_4) | instid1(VALU_DEP_1)
	v_fma_f64 v[26:27], v[9:10], v[2:3], -v[0:1]
	scratch_load_b128 v[9:12], off, off offset:1264 th:TH_LOAD_LU ; 16-byte Folded Reload
	ds_load_b128 v[0:3], v8 offset:32000
	s_wait_loadcnt_dscnt 0x0
	v_mul_f64_e32 v[4:5], v[11:12], v[2:3]
	v_fma_f64 v[30:31], v[9:10], v[0:1], v[4:5]
	v_mul_f64_e32 v[0:1], v[11:12], v[0:1]
	s_delay_alu instid0(VALU_DEP_2) | instskip(NEXT) | instid1(VALU_DEP_2)
	v_add_f64_e64 v[108:109], v[24:25], -v[30:31]
	v_fma_f64 v[28:29], v[9:10], v[2:3], -v[0:1]
	scratch_load_b128 v[9:12], off, off offset:1248 th:TH_LOAD_LU ; 16-byte Folded Reload
	ds_load_b128 v[0:3], v8 offset:42000
	s_wait_loadcnt_dscnt 0x0
	v_mul_f64_e32 v[4:5], v[11:12], v[2:3]
	s_delay_alu instid0(VALU_DEP_1) | instskip(SKIP_1) | instid1(VALU_DEP_1)
	v_fma_f64 v[36:37], v[9:10], v[0:1], v[4:5]
	v_mul_f64_e32 v[0:1], v[11:12], v[0:1]
	v_fma_f64 v[38:39], v[9:10], v[2:3], -v[0:1]
	ds_load_b128 v[0:3], v8 offset:14000
	s_wait_dscnt 0x0
	v_mul_f64_e32 v[4:5], v[238:239], v[2:3]
	s_delay_alu instid0(VALU_DEP_1) | instskip(SKIP_1) | instid1(VALU_DEP_1)
	v_fma_f64 v[6:7], v[236:237], v[0:1], v[4:5]
	v_mul_f64_e32 v[0:1], v[238:239], v[0:1]
	v_fma_f64 v[4:5], v[236:237], v[2:3], -v[0:1]
	ds_load_b128 v[0:3], v8 offset:24000
	s_wait_dscnt 0x0
	v_mul_f64_e32 v[9:10], v[222:223], v[2:3]
	s_delay_alu instid0(VALU_DEP_1) | instskip(SKIP_1) | instid1(VALU_DEP_2)
	v_fma_f64 v[80:81], v[220:221], v[0:1], v[9:10]
	v_mul_f64_e32 v[0:1], v[222:223], v[0:1]
	v_add_f64_e64 v[114:115], v[80:81], -v[6:7]
	s_delay_alu instid0(VALU_DEP_2) | instskip(SKIP_3) | instid1(VALU_DEP_1)
	v_fma_f64 v[10:11], v[220:221], v[2:3], -v[0:1]
	ds_load_b128 v[0:3], v8 offset:34000
	s_wait_dscnt 0x0
	v_mul_f64_e32 v[12:13], v[234:235], v[2:3]
	v_fma_f64 v[14:15], v[232:233], v[0:1], v[12:13]
	v_mul_f64_e32 v[0:1], v[234:235], v[0:1]
	s_delay_alu instid0(VALU_DEP_2) | instskip(NEXT) | instid1(VALU_DEP_2)
	v_add_f64_e64 v[112:113], v[80:81], -v[14:15]
	v_fma_f64 v[12:13], v[232:233], v[2:3], -v[0:1]
	ds_load_b128 v[0:3], v8 offset:44000
	s_wait_dscnt 0x0
	v_mul_f64_e32 v[20:21], v[226:227], v[2:3]
	s_delay_alu instid0(VALU_DEP_1) | instskip(SKIP_1) | instid1(VALU_DEP_1)
	v_fma_f64 v[20:21], v[224:225], v[0:1], v[20:21]
	v_mul_f64_e32 v[0:1], v[226:227], v[0:1]
	v_fma_f64 v[22:23], v[224:225], v[2:3], -v[0:1]
	ds_load_b128 v[0:3], v8 offset:16000
	s_wait_dscnt 0x0
	v_mul_f64_e32 v[52:53], v[56:57], v[2:3]
	s_delay_alu instid0(VALU_DEP_1) | instskip(SKIP_1) | instid1(VALU_DEP_1)
	v_fma_f64 v[60:61], v[54:55], v[0:1], v[52:53]
	v_mul_f64_e32 v[0:1], v[56:57], v[0:1]
	;; [unrolled: 7-line block ×3, first 2 shown]
	v_fma_f64 v[66:67], v[66:67], v[2:3], -v[0:1]
	ds_load_b128 v[0:3], v8 offset:36000
	s_wait_dscnt 0x0
	v_mul_f64_e32 v[52:53], v[74:75], v[2:3]
	s_delay_alu instid0(VALU_DEP_1) | instskip(SKIP_1) | instid1(VALU_DEP_2)
	v_fma_f64 v[70:71], v[72:73], v[0:1], v[52:53]
	v_mul_f64_e32 v[0:1], v[74:75], v[0:1]
	v_add_f64_e64 v[116:117], v[64:65], -v[70:71]
	s_delay_alu instid0(VALU_DEP_2) | instskip(SKIP_4) | instid1(VALU_DEP_1)
	v_fma_f64 v[68:69], v[72:73], v[2:3], -v[0:1]
	scratch_load_b128 v[72:75], off, off offset:412 th:TH_LOAD_LU ; 16-byte Folded Reload
	ds_load_b128 v[0:3], v8 offset:46000
	s_wait_loadcnt_dscnt 0x0
	v_mul_f64_e32 v[52:53], v[74:75], v[2:3]
	v_fma_f64 v[76:77], v[72:73], v[0:1], v[52:53]
	v_mul_f64_e32 v[0:1], v[74:75], v[0:1]
	ds_load_b128 v[52:55], v8 offset:18000
	v_fma_f64 v[78:79], v[72:73], v[2:3], -v[0:1]
	scratch_load_b128 v[72:75], off, off offset:508 th:TH_LOAD_LU ; 16-byte Folded Reload
	s_wait_loadcnt_dscnt 0x0
	v_mul_f64_e32 v[0:1], v[74:75], v[54:55]
	v_mul_f64_e32 v[2:3], v[74:75], v[52:53]
	s_delay_alu instid0(VALU_DEP_2) | instskip(NEXT) | instid1(VALU_DEP_2)
	v_fma_f64 v[0:1], v[72:73], v[52:53], v[0:1]
	v_fma_f64 v[2:3], v[72:73], v[54:55], -v[2:3]
	ds_load_b128 v[72:75], v8 offset:28000
	s_wait_dscnt 0x0
	v_mul_f64_e32 v[52:53], v[84:85], v[74:75]
	v_mul_f64_e32 v[54:55], v[84:85], v[72:73]
	s_delay_alu instid0(VALU_DEP_2) | instskip(NEXT) | instid1(VALU_DEP_2)
	v_fma_f64 v[52:53], v[82:83], v[72:73], v[52:53]
	v_fma_f64 v[54:55], v[82:83], v[74:75], -v[54:55]
	scratch_load_b128 v[82:85], off, off offset:476 th:TH_LOAD_LU ; 16-byte Folded Reload
	ds_load_b128 v[72:75], v8 offset:38000
	s_wait_loadcnt_dscnt 0x0
	v_mul_f64_e32 v[58:59], v[84:85], v[74:75]
	s_delay_alu instid0(VALU_DEP_1) | instskip(SKIP_1) | instid1(VALU_DEP_2)
	v_fma_f64 v[62:63], v[82:83], v[72:73], v[58:59]
	v_mul_f64_e32 v[58:59], v[84:85], v[72:73]
	v_add_f64_e64 v[122:123], v[52:53], -v[62:63]
	s_delay_alu instid0(VALU_DEP_2)
	v_fma_f64 v[58:59], v[82:83], v[74:75], -v[58:59]
	ds_load_b128 v[82:85], v8 offset:48000
	s_wait_dscnt 0x0
	v_mul_f64_e32 v[72:73], v[88:89], v[84:85]
	v_mul_f64_e32 v[74:75], v[88:89], v[82:83]
	v_add_f64_e64 v[118:119], v[54:55], -v[58:59]
	s_delay_alu instid0(VALU_DEP_3) | instskip(NEXT) | instid1(VALU_DEP_3)
	v_fma_f64 v[72:73], v[86:87], v[82:83], v[72:73]
	v_fma_f64 v[74:75], v[86:87], v[84:85], -v[74:75]
	v_add_f64_e64 v[82:83], v[34:35], -v[40:41]
	v_add_f64_e64 v[84:85], v[48:49], -v[46:47]
	v_add_f64_e32 v[86:87], v[40:41], v[46:47]
	v_add_f64_e64 v[124:125], v[0:1], -v[72:73]
	v_add_f64_e64 v[120:121], v[2:3], -v[74:75]
	s_delay_alu instid0(VALU_DEP_4) | instskip(SKIP_2) | instid1(VALU_DEP_1)
	v_add_f64_e32 v[90:91], v[82:83], v[84:85]
	v_add_f64_e64 v[82:83], v[32:33], -v[42:43]
	v_add_f64_e64 v[84:85], v[50:51], -v[44:45]
	v_add_f64_e32 v[92:93], v[82:83], v[84:85]
	ds_load_b128 v[82:85], v8
	s_wait_dscnt 0x0
	v_fma_f64 v[94:95], v[86:87], -0.5, v[82:83]
	v_add_f64_e32 v[86:87], v[42:43], v[44:45]
	s_delay_alu instid0(VALU_DEP_1) | instskip(NEXT) | instid1(VALU_DEP_3)
	v_fma_f64 v[96:97], v[86:87], -0.5, v[84:85]
	v_fma_f64 v[86:87], v[98:99], s[20:21], v[94:95]
	v_fma_f64 v[94:95], v[98:99], s[18:19], v[94:95]
	s_delay_alu instid0(VALU_DEP_3) | instskip(SKIP_1) | instid1(VALU_DEP_4)
	v_fma_f64 v[88:89], v[102:103], s[18:19], v[96:97]
	v_fma_f64 v[96:97], v[102:103], s[20:21], v[96:97]
	;; [unrolled: 1-line block ×3, first 2 shown]
	s_delay_alu instid0(VALU_DEP_4) | instskip(NEXT) | instid1(VALU_DEP_4)
	v_fma_f64 v[94:95], v[100:101], s[12:13], v[94:95]
	v_fma_f64 v[88:89], v[104:105], s[12:13], v[88:89]
	s_delay_alu instid0(VALU_DEP_4) | instskip(NEXT) | instid1(VALU_DEP_4)
	v_fma_f64 v[96:97], v[104:105], s[14:15], v[96:97]
	v_fma_f64 v[86:87], v[90:91], s[16:17], v[86:87]
	s_delay_alu instid0(VALU_DEP_4) | instskip(SKIP_4) | instid1(VALU_DEP_4)
	v_fma_f64 v[90:91], v[90:91], s[16:17], v[94:95]
	v_add_f64_e32 v[94:95], v[34:35], v[48:49]
	v_fma_f64 v[88:89], v[92:93], s[16:17], v[88:89]
	v_fma_f64 v[92:93], v[92:93], s[16:17], v[96:97]
	v_add_f64_e32 v[96:97], v[32:33], v[50:51]
	v_fma_f64 v[94:95], v[94:95], -0.5, v[82:83]
	v_add_f64_e32 v[82:83], v[82:83], v[34:35]
	s_delay_alu instid0(VALU_DEP_3) | instskip(SKIP_1) | instid1(VALU_DEP_3)
	v_fma_f64 v[96:97], v[96:97], -0.5, v[84:85]
	v_add_f64_e32 v[84:85], v[84:85], v[32:33]
	v_add_f64_e32 v[34:35], v[82:83], v[40:41]
	s_delay_alu instid0(VALU_DEP_3) | instskip(NEXT) | instid1(VALU_DEP_3)
	v_fma_f64 v[82:83], v[104:105], s[18:19], v[96:97]
	v_add_f64_e32 v[40:41], v[84:85], v[42:43]
	v_add_f64_e64 v[42:43], v[42:43], -v[32:33]
	s_delay_alu instid0(VALU_DEP_4) | instskip(NEXT) | instid1(VALU_DEP_3)
	v_add_f64_e32 v[32:33], v[34:35], v[46:47]
	v_add_f64_e32 v[34:35], v[40:41], v[44:45]
	v_add_f64_e64 v[40:41], v[46:47], -v[48:49]
	s_delay_alu instid0(VALU_DEP_3)
	v_add_f64_e32 v[32:33], v[32:33], v[48:49]
	v_add_f64_e64 v[44:45], v[44:45], -v[50:51]
	v_fma_f64 v[46:47], v[100:101], s[18:19], v[94:95]
	v_fma_f64 v[48:49], v[100:101], s[20:21], v[94:95]
	v_add_f64_e32 v[34:35], v[34:35], v[50:51]
	v_fma_f64 v[50:51], v[104:105], s[20:21], v[96:97]
	v_add_f64_e32 v[84:85], v[106:107], v[40:41]
	v_add_f64_e32 v[94:95], v[42:43], v[44:45]
	v_fma_f64 v[40:41], v[98:99], s[14:15], v[46:47]
	v_fma_f64 v[44:45], v[98:99], s[12:13], v[48:49]
	;; [unrolled: 1-line block ×3, first 2 shown]
	v_add_f64_e64 v[48:49], v[18:19], -v[24:25]
	v_add_f64_e32 v[82:83], v[24:25], v[30:31]
	v_add_f64_e64 v[106:107], v[18:19], -v[36:37]
	v_add_f64_e64 v[104:105], v[26:27], -v[28:29]
	v_fma_f64 v[42:43], v[102:103], s[12:13], v[50:51]
	v_add_f64_e64 v[50:51], v[36:37], -v[30:31]
	v_add_f64_e64 v[102:103], v[16:17], -v[38:39]
	v_fma_f64 v[40:41], v[84:85], s[16:17], v[40:41]
	v_fma_f64 v[44:45], v[84:85], s[16:17], v[44:45]
	v_fma_f64 v[46:47], v[94:95], s[16:17], v[46:47]
	v_fma_f64 v[42:43], v[94:95], s[16:17], v[42:43]
	v_add_f64_e32 v[94:95], v[48:49], v[50:51]
	v_add_f64_e64 v[48:49], v[16:17], -v[26:27]
	v_add_f64_e64 v[50:51], v[38:39], -v[28:29]
	s_delay_alu instid0(VALU_DEP_1) | instskip(SKIP_4) | instid1(VALU_DEP_1)
	v_add_f64_e32 v[96:97], v[48:49], v[50:51]
	ds_load_b128 v[48:51], v8 offset:2000
	s_wait_dscnt 0x0
	v_fma_f64 v[98:99], v[82:83], -0.5, v[48:49]
	v_add_f64_e32 v[82:83], v[26:27], v[28:29]
	v_fma_f64 v[100:101], v[82:83], -0.5, v[50:51]
	s_delay_alu instid0(VALU_DEP_3) | instskip(SKIP_1) | instid1(VALU_DEP_3)
	v_fma_f64 v[82:83], v[102:103], s[20:21], v[98:99]
	v_fma_f64 v[98:99], v[102:103], s[18:19], v[98:99]
	;; [unrolled: 1-line block ×4, first 2 shown]
	s_delay_alu instid0(VALU_DEP_4) | instskip(NEXT) | instid1(VALU_DEP_4)
	v_fma_f64 v[82:83], v[104:105], s[14:15], v[82:83]
	v_fma_f64 v[98:99], v[104:105], s[12:13], v[98:99]
	s_delay_alu instid0(VALU_DEP_4) | instskip(NEXT) | instid1(VALU_DEP_4)
	v_fma_f64 v[84:85], v[108:109], s[12:13], v[84:85]
	v_fma_f64 v[100:101], v[108:109], s[14:15], v[100:101]
	;; [unrolled: 3-line block ×3, first 2 shown]
	v_add_f64_e32 v[98:99], v[18:19], v[36:37]
	v_fma_f64 v[84:85], v[96:97], s[16:17], v[84:85]
	v_fma_f64 v[96:97], v[96:97], s[16:17], v[100:101]
	v_add_f64_e32 v[100:101], v[16:17], v[38:39]
	s_delay_alu instid0(VALU_DEP_4) | instskip(SKIP_1) | instid1(VALU_DEP_3)
	v_fma_f64 v[98:99], v[98:99], -0.5, v[48:49]
	v_add_f64_e32 v[48:49], v[48:49], v[18:19]
	v_fma_f64 v[100:101], v[100:101], -0.5, v[50:51]
	v_add_f64_e32 v[50:51], v[50:51], v[16:17]
	s_delay_alu instid0(VALU_DEP_3) | instskip(NEXT) | instid1(VALU_DEP_3)
	v_add_f64_e32 v[18:19], v[48:49], v[24:25]
	v_fma_f64 v[48:49], v[108:109], s[18:19], v[100:101]
	s_delay_alu instid0(VALU_DEP_3) | instskip(SKIP_1) | instid1(VALU_DEP_4)
	v_add_f64_e32 v[24:25], v[50:51], v[26:27]
	v_add_f64_e64 v[26:27], v[26:27], -v[16:17]
	v_add_f64_e32 v[16:17], v[18:19], v[30:31]
	s_delay_alu instid0(VALU_DEP_3) | instskip(SKIP_1) | instid1(VALU_DEP_3)
	v_add_f64_e32 v[18:19], v[24:25], v[28:29]
	v_add_f64_e64 v[24:25], v[30:31], -v[36:37]
	v_add_f64_e32 v[16:17], v[16:17], v[36:37]
	v_add_f64_e64 v[28:29], v[28:29], -v[38:39]
	v_fma_f64 v[30:31], v[104:105], s[18:19], v[98:99]
	v_fma_f64 v[36:37], v[104:105], s[20:21], v[98:99]
	v_add_f64_e32 v[18:19], v[18:19], v[38:39]
	v_fma_f64 v[38:39], v[108:109], s[20:21], v[100:101]
	v_add_f64_e32 v[50:51], v[110:111], v[24:25]
	v_add_f64_e32 v[98:99], v[26:27], v[28:29]
	v_fma_f64 v[24:25], v[102:103], s[14:15], v[30:31]
	v_fma_f64 v[28:29], v[102:103], s[12:13], v[36:37]
	;; [unrolled: 1-line block ×3, first 2 shown]
	v_add_f64_e64 v[36:37], v[6:7], -v[80:81]
	v_add_f64_e32 v[48:49], v[80:81], v[14:15]
	v_add_f64_e64 v[110:111], v[6:7], -v[20:21]
	v_add_f64_e64 v[108:109], v[10:11], -v[12:13]
	v_fma_f64 v[26:27], v[106:107], s[12:13], v[38:39]
	v_add_f64_e64 v[38:39], v[20:21], -v[14:15]
	v_add_f64_e64 v[106:107], v[4:5], -v[22:23]
	v_fma_f64 v[24:25], v[50:51], s[16:17], v[24:25]
	v_fma_f64 v[28:29], v[50:51], s[16:17], v[28:29]
	;; [unrolled: 1-line block ×4, first 2 shown]
	v_add_f64_e32 v[98:99], v[36:37], v[38:39]
	v_add_f64_e64 v[36:37], v[4:5], -v[10:11]
	v_add_f64_e64 v[38:39], v[22:23], -v[12:13]
	s_delay_alu instid0(VALU_DEP_1) | instskip(SKIP_4) | instid1(VALU_DEP_1)
	v_add_f64_e32 v[100:101], v[36:37], v[38:39]
	ds_load_b128 v[36:39], v8 offset:4000
	s_wait_dscnt 0x0
	v_fma_f64 v[102:103], v[48:49], -0.5, v[36:37]
	v_add_f64_e32 v[48:49], v[10:11], v[12:13]
	v_fma_f64 v[104:105], v[48:49], -0.5, v[38:39]
	s_delay_alu instid0(VALU_DEP_3) | instskip(SKIP_1) | instid1(VALU_DEP_3)
	v_fma_f64 v[48:49], v[106:107], s[20:21], v[102:103]
	v_fma_f64 v[102:103], v[106:107], s[18:19], v[102:103]
	;; [unrolled: 1-line block ×4, first 2 shown]
	s_delay_alu instid0(VALU_DEP_4) | instskip(NEXT) | instid1(VALU_DEP_4)
	v_fma_f64 v[48:49], v[108:109], s[14:15], v[48:49]
	v_fma_f64 v[102:103], v[108:109], s[12:13], v[102:103]
	s_delay_alu instid0(VALU_DEP_4) | instskip(NEXT) | instid1(VALU_DEP_4)
	v_fma_f64 v[50:51], v[112:113], s[12:13], v[50:51]
	v_fma_f64 v[104:105], v[112:113], s[14:15], v[104:105]
	;; [unrolled: 3-line block ×3, first 2 shown]
	v_add_f64_e32 v[102:103], v[6:7], v[20:21]
	v_fma_f64 v[50:51], v[100:101], s[16:17], v[50:51]
	v_fma_f64 v[100:101], v[100:101], s[16:17], v[104:105]
	v_add_f64_e32 v[104:105], v[4:5], v[22:23]
	s_delay_alu instid0(VALU_DEP_4) | instskip(SKIP_1) | instid1(VALU_DEP_3)
	v_fma_f64 v[102:103], v[102:103], -0.5, v[36:37]
	v_add_f64_e32 v[36:37], v[36:37], v[6:7]
	v_fma_f64 v[104:105], v[104:105], -0.5, v[38:39]
	v_add_f64_e32 v[38:39], v[38:39], v[4:5]
	s_delay_alu instid0(VALU_DEP_3) | instskip(NEXT) | instid1(VALU_DEP_2)
	v_add_f64_e32 v[6:7], v[36:37], v[80:81]
	v_add_f64_e32 v[36:37], v[38:39], v[10:11]
	v_add_f64_e64 v[9:10], v[10:11], -v[4:5]
	s_delay_alu instid0(VALU_DEP_3)
	v_add_f64_e32 v[4:5], v[6:7], v[14:15]
	v_add_f64_e64 v[14:15], v[14:15], -v[20:21]
	v_fma_f64 v[38:39], v[112:113], s[18:19], v[104:105]
	v_add_f64_e32 v[6:7], v[36:37], v[12:13]
	v_add_f64_e64 v[11:12], v[12:13], -v[22:23]
	v_add_f64_e32 v[4:5], v[4:5], v[20:21]
	v_fma_f64 v[20:21], v[108:109], s[18:19], v[102:103]
	v_fma_f64 v[36:37], v[112:113], s[20:21], v[104:105]
	v_add_f64_e32 v[13:14], v[114:115], v[14:15]
	v_add_f64_e64 v[112:113], v[66:67], -v[68:69]
	v_add_f64_e64 v[114:115], v[60:61], -v[76:77]
	v_add_f64_e32 v[6:7], v[6:7], v[22:23]
	v_fma_f64 v[22:23], v[108:109], s[20:21], v[102:103]
	v_add_f64_e32 v[80:81], v[9:10], v[11:12]
	v_fma_f64 v[9:10], v[106:107], s[14:15], v[20:21]
	v_fma_f64 v[11:12], v[110:111], s[12:13], v[36:37]
	v_add_f64_e64 v[36:37], v[76:77], -v[70:71]
	v_add_f64_e32 v[102:103], v[64:65], v[70:71]
	v_fma_f64 v[20:21], v[106:107], s[12:13], v[22:23]
	v_fma_f64 v[22:23], v[110:111], s[14:15], v[38:39]
	v_fma_f64 v[9:10], v[13:14], s[16:17], v[9:10]
	v_add_f64_e64 v[38:39], v[78:79], -v[68:69]
	v_fma_f64 v[11:12], v[80:81], s[16:17], v[11:12]
	v_add_f64_e64 v[110:111], v[56:57], -v[78:79]
	v_fma_f64 v[20:21], v[13:14], s[16:17], v[20:21]
	v_add_f64_e64 v[13:14], v[60:61], -v[64:65]
	v_fma_f64 v[22:23], v[80:81], s[16:17], v[22:23]
	s_delay_alu instid0(VALU_DEP_2) | instskip(SKIP_1) | instid1(VALU_DEP_1)
	v_add_f64_e32 v[13:14], v[13:14], v[36:37]
	v_add_f64_e64 v[36:37], v[56:57], -v[66:67]
	v_add_f64_e32 v[80:81], v[36:37], v[38:39]
	ds_load_b128 v[36:39], v8 offset:6000
	s_wait_dscnt 0x0
	v_fma_f64 v[106:107], v[102:103], -0.5, v[36:37]
	v_add_f64_e32 v[102:103], v[66:67], v[68:69]
	s_delay_alu instid0(VALU_DEP_1) | instskip(NEXT) | instid1(VALU_DEP_3)
	v_fma_f64 v[108:109], v[102:103], -0.5, v[38:39]
	v_fma_f64 v[102:103], v[110:111], s[20:21], v[106:107]
	v_fma_f64 v[106:107], v[110:111], s[18:19], v[106:107]
	s_delay_alu instid0(VALU_DEP_3) | instskip(NEXT) | instid1(VALU_DEP_3)
	v_fma_f64 v[104:105], v[114:115], s[18:19], v[108:109]
	v_fma_f64 v[102:103], v[112:113], s[14:15], v[102:103]
	;; [unrolled: 1-line block ×3, first 2 shown]
	s_delay_alu instid0(VALU_DEP_4) | instskip(NEXT) | instid1(VALU_DEP_4)
	v_fma_f64 v[106:107], v[112:113], s[12:13], v[106:107]
	v_fma_f64 v[104:105], v[116:117], s[12:13], v[104:105]
	s_delay_alu instid0(VALU_DEP_4) | instskip(NEXT) | instid1(VALU_DEP_4)
	v_fma_f64 v[102:103], v[13:14], s[16:17], v[102:103]
	v_fma_f64 v[108:109], v[116:117], s[14:15], v[108:109]
	s_delay_alu instid0(VALU_DEP_4) | instskip(SKIP_2) | instid1(VALU_DEP_4)
	v_fma_f64 v[106:107], v[13:14], s[16:17], v[106:107]
	v_add_f64_e32 v[13:14], v[60:61], v[76:77]
	v_fma_f64 v[104:105], v[80:81], s[16:17], v[104:105]
	v_fma_f64 v[108:109], v[80:81], s[16:17], v[108:109]
	v_add_f64_e32 v[80:81], v[56:57], v[78:79]
	s_delay_alu instid0(VALU_DEP_4) | instskip(SKIP_2) | instid1(VALU_DEP_4)
	v_fma_f64 v[13:14], v[13:14], -0.5, v[36:37]
	v_add_f64_e32 v[36:37], v[36:37], v[60:61]
	v_add_f64_e64 v[60:61], v[64:65], -v[60:61]
	v_fma_f64 v[80:81], v[80:81], -0.5, v[38:39]
	v_add_f64_e32 v[38:39], v[38:39], v[56:57]
	s_delay_alu instid0(VALU_DEP_4) | instskip(SKIP_2) | instid1(VALU_DEP_4)
	v_add_f64_e32 v[36:37], v[36:37], v[64:65]
	v_add_f64_e64 v[56:57], v[66:67], -v[56:57]
	v_add_f64_e64 v[64:65], v[70:71], -v[76:77]
	v_add_f64_e32 v[38:39], v[38:39], v[66:67]
	s_delay_alu instid0(VALU_DEP_4)
	v_add_f64_e32 v[36:37], v[36:37], v[70:71]
	v_add_f64_e64 v[66:67], v[68:69], -v[78:79]
	v_fma_f64 v[70:71], v[116:117], s[20:21], v[80:81]
	v_add_f64_e32 v[60:61], v[60:61], v[64:65]
	v_add_f64_e32 v[38:39], v[38:39], v[68:69]
	;; [unrolled: 1-line block ×3, first 2 shown]
	v_fma_f64 v[68:69], v[112:113], s[18:19], v[13:14]
	v_fma_f64 v[13:14], v[112:113], s[20:21], v[13:14]
	;; [unrolled: 1-line block ×3, first 2 shown]
	v_add_f64_e32 v[56:57], v[56:57], v[66:67]
	v_fma_f64 v[66:67], v[114:115], s[12:13], v[70:71]
	v_add_f64_e32 v[80:81], v[2:3], v[74:75]
	v_add_f64_e32 v[38:39], v[38:39], v[78:79]
	v_fma_f64 v[64:65], v[110:111], s[14:15], v[68:69]
	v_fma_f64 v[13:14], v[110:111], s[12:13], v[13:14]
	v_fma_f64 v[70:71], v[114:115], s[14:15], v[76:77]
	ds_load_b128 v[76:79], v8 offset:8000
	v_fma_f64 v[66:67], v[56:57], s[16:17], v[66:67]
	s_wait_dscnt 0x0
	v_fma_f64 v[80:81], v[80:81], -0.5, v[78:79]
	v_fma_f64 v[64:65], v[60:61], s[16:17], v[64:65]
	v_fma_f64 v[68:69], v[60:61], s[16:17], v[13:14]
	;; [unrolled: 1-line block ×3, first 2 shown]
	v_add_f64_e64 v[13:14], v[52:53], -v[0:1]
	v_add_f64_e64 v[56:57], v[62:63], -v[72:73]
	;; [unrolled: 1-line block ×3, first 2 shown]
	v_fma_f64 v[112:113], v[122:123], s[20:21], v[80:81]
	v_fma_f64 v[80:81], v[122:123], s[18:19], v[80:81]
	s_delay_alu instid0(VALU_DEP_4) | instskip(SKIP_1) | instid1(VALU_DEP_4)
	v_add_f64_e32 v[13:14], v[13:14], v[56:57]
	v_add_f64_e64 v[56:57], v[54:55], -v[2:3]
	v_fma_f64 v[112:113], v[124:125], s[12:13], v[112:113]
	s_delay_alu instid0(VALU_DEP_4) | instskip(NEXT) | instid1(VALU_DEP_3)
	v_fma_f64 v[80:81], v[124:125], s[14:15], v[80:81]
	v_add_f64_e32 v[56:57], v[56:57], v[60:61]
	v_add_f64_e32 v[60:61], v[0:1], v[72:73]
	s_delay_alu instid0(VALU_DEP_2) | instskip(NEXT) | instid1(VALU_DEP_2)
	v_fma_f64 v[112:113], v[56:57], s[16:17], v[112:113]
	v_fma_f64 v[60:61], v[60:61], -0.5, v[76:77]
	v_fma_f64 v[116:117], v[56:57], s[16:17], v[80:81]
	v_add_f64_e32 v[56:57], v[54:55], v[58:59]
	s_delay_alu instid0(VALU_DEP_3) | instskip(SKIP_1) | instid1(VALU_DEP_3)
	v_fma_f64 v[110:111], v[118:119], s[18:19], v[60:61]
	v_fma_f64 v[60:61], v[118:119], s[20:21], v[60:61]
	v_fma_f64 v[56:57], v[56:57], -0.5, v[78:79]
	s_delay_alu instid0(VALU_DEP_3) | instskip(NEXT) | instid1(VALU_DEP_3)
	v_fma_f64 v[110:111], v[120:121], s[14:15], v[110:111]
	v_fma_f64 v[60:61], v[120:121], s[12:13], v[60:61]
	s_delay_alu instid0(VALU_DEP_2) | instskip(NEXT) | instid1(VALU_DEP_2)
	v_fma_f64 v[110:111], v[13:14], s[16:17], v[110:111]
	v_fma_f64 v[114:115], v[13:14], s[16:17], v[60:61]
	v_add_f64_e32 v[13:14], v[52:53], v[62:63]
	v_add_f64_e32 v[60:61], v[78:79], v[2:3]
	v_add_f64_e64 v[78:79], v[2:3], -v[54:55]
	s_delay_alu instid0(VALU_DEP_3) | instskip(SKIP_1) | instid1(VALU_DEP_4)
	v_fma_f64 v[13:14], v[13:14], -0.5, v[76:77]
	v_add_f64_e32 v[76:77], v[76:77], v[0:1]
	v_add_f64_e32 v[2:3], v[60:61], v[54:55]
	s_delay_alu instid0(VALU_DEP_3) | instskip(NEXT) | instid1(VALU_DEP_3)
	v_fma_f64 v[60:61], v[120:121], s[20:21], v[13:14]
	v_add_f64_e32 v[54:55], v[76:77], v[52:53]
	v_add_f64_e64 v[52:53], v[0:1], -v[52:53]
	s_delay_alu instid0(VALU_DEP_4)
	v_add_f64_e32 v[2:3], v[2:3], v[58:59]
	v_add_f64_e64 v[58:59], v[74:75], -v[58:59]
	v_fma_f64 v[13:14], v[120:121], s[18:19], v[13:14]
	v_add_f64_e32 v[0:1], v[54:55], v[62:63]
	v_add_f64_e64 v[54:55], v[72:73], -v[62:63]
	v_fma_f64 v[62:63], v[124:125], s[18:19], v[56:57]
	v_fma_f64 v[56:57], v[124:125], s[20:21], v[56:57]
	v_add_f64_e32 v[58:59], v[78:79], v[58:59]
	v_fma_f64 v[13:14], v[118:119], s[12:13], v[13:14]
	v_add_f64_e32 v[2:3], v[2:3], v[74:75]
	v_add_f64_e32 v[0:1], v[0:1], v[72:73]
	;; [unrolled: 1-line block ×3, first 2 shown]
	v_fma_f64 v[52:53], v[118:119], s[14:15], v[60:61]
	v_fma_f64 v[54:55], v[122:123], s[12:13], v[62:63]
	;; [unrolled: 1-line block ×3, first 2 shown]
	s_delay_alu instid0(VALU_DEP_4) | instskip(NEXT) | instid1(VALU_DEP_4)
	v_fma_f64 v[56:57], v[72:73], s[16:17], v[13:14]
	v_fma_f64 v[52:53], v[72:73], s[16:17], v[52:53]
	s_delay_alu instid0(VALU_DEP_4) | instskip(NEXT) | instid1(VALU_DEP_4)
	v_fma_f64 v[54:55], v[58:59], s[16:17], v[54:55]
	v_fma_f64 v[58:59], v[58:59], s[16:17], v[60:61]
	ds_store_b128 v8, v[32:35]
	ds_store_b128 v8, v[16:19] offset:2000
	ds_store_b128 v8, v[4:7] offset:4000
	;; [unrolled: 1-line block ×24, first 2 shown]
	global_wb scope:SCOPE_SE
	s_wait_dscnt 0x0
	s_barrier_signal -1
	s_barrier_wait -1
	global_inv scope:SCOPE_SE
	s_clause 0x1
	scratch_load_b128 v[9:12], off, off offset:392 th:TH_LOAD_LU
	scratch_load_b128 v[15:18], off, off offset:360 th:TH_LOAD_LU
	ds_load_b128 v[0:3], v8
	s_clause 0x15
	scratch_load_b128 v[19:22], off, off offset:344 th:TH_LOAD_LU
	scratch_load_b128 v[23:26], off, off offset:328 th:TH_LOAD_LU
	;; [unrolled: 1-line block ×22, first 2 shown]
	s_wait_loadcnt_dscnt 0x1700
	v_mul_f64_e32 v[4:5], v[11:12], v[2:3]
	s_delay_alu instid0(VALU_DEP_1)
	v_fma_f64 v[4:5], v[9:10], v[0:1], v[4:5]
	v_mul_f64_e32 v[0:1], v[11:12], v[0:1]
	scratch_load_b128 v[11:14], off, off offset:376 th:TH_LOAD_LU ; 16-byte Folded Reload
	v_fma_f64 v[6:7], v[9:10], v[2:3], -v[0:1]
	ds_load_b128 v[0:3], v8 offset:10000
	s_wait_loadcnt_dscnt 0x0
	v_mul_f64_e32 v[9:10], v[13:14], v[2:3]
	s_delay_alu instid0(VALU_DEP_1) | instskip(SKIP_1) | instid1(VALU_DEP_1)
	v_fma_f64 v[9:10], v[11:12], v[0:1], v[9:10]
	v_mul_f64_e32 v[0:1], v[13:14], v[0:1]
	v_fma_f64 v[11:12], v[11:12], v[2:3], -v[0:1]
	ds_load_b128 v[0:3], v8 offset:20000
	s_wait_dscnt 0x0
	v_mul_f64_e32 v[13:14], v[17:18], v[2:3]
	s_delay_alu instid0(VALU_DEP_1) | instskip(SKIP_1) | instid1(VALU_DEP_1)
	v_fma_f64 v[13:14], v[15:16], v[0:1], v[13:14]
	v_mul_f64_e32 v[0:1], v[17:18], v[0:1]
	v_fma_f64 v[15:16], v[15:16], v[2:3], -v[0:1]
	ds_load_b128 v[0:3], v8 offset:30000
	s_wait_dscnt 0x0
	;; [unrolled: 7-line block ×22, first 2 shown]
	v_mul_f64_e32 v[97:98], v[101:102], v[2:3]
	s_delay_alu instid0(VALU_DEP_1) | instskip(SKIP_1) | instid1(VALU_DEP_1)
	v_fma_f64 v[97:98], v[99:100], v[0:1], v[97:98]
	v_mul_f64_e32 v[0:1], v[101:102], v[0:1]
	v_fma_f64 v[99:100], v[99:100], v[2:3], -v[0:1]
	ds_load_b128 v[0:3], v8 offset:48000
	scratch_load_b32 v8, off, off offset:408 th:TH_LOAD_LU ; 4-byte Folded Reload
	s_wait_dscnt 0x0
	v_mul_f64_e32 v[101:102], v[105:106], v[2:3]
	s_delay_alu instid0(VALU_DEP_1) | instskip(SKIP_1) | instid1(VALU_DEP_1)
	v_fma_f64 v[101:102], v[103:104], v[0:1], v[101:102]
	v_mul_f64_e32 v[0:1], v[105:106], v[0:1]
	v_fma_f64 v[103:104], v[103:104], v[2:3], -v[0:1]
	scratch_load_b64 v[1:2], off, off th:TH_LOAD_LU ; 8-byte Folded Reload
	s_wait_loadcnt 0x0
	v_mul_f64_e32 v[2:3], s[8:9], v[6:7]
	v_mad_co_u64_u32 v[107:108], null, s4, v8, 0
	v_mad_co_u64_u32 v[105:106], null, s6, v1, 0
	s_delay_alu instid0(VALU_DEP_1) | instskip(NEXT) | instid1(VALU_DEP_1)
	v_mov_b32_e32 v0, v106
	v_mad_co_u64_u32 v[109:110], null, s7, v1, v[0:1]
	v_mul_f64_e32 v[0:1], s[8:9], v[4:5]
	v_mov_b32_e32 v4, v108
	s_delay_alu instid0(VALU_DEP_1) | instskip(NEXT) | instid1(VALU_DEP_4)
	v_mad_co_u64_u32 v[4:5], null, s5, v8, v[4:5]
	v_mov_b32_e32 v106, v109
	s_delay_alu instid0(VALU_DEP_1) | instskip(NEXT) | instid1(VALU_DEP_3)
	v_lshlrev_b64_e32 v[7:8], 4, v[105:106]
	v_mov_b32_e32 v108, v4
	v_mul_f64_e32 v[4:5], s[8:9], v[9:10]
	s_delay_alu instid0(VALU_DEP_2) | instskip(NEXT) | instid1(VALU_DEP_4)
	v_lshlrev_b64_e32 v[105:106], 4, v[107:108]
	v_add_co_u32 v107, vcc_lo, s0, v7
	s_wait_alu 0xfffd
	v_add_co_ci_u32_e32 v8, vcc_lo, s1, v8, vcc_lo
	v_mul_f64_e32 v[6:7], s[8:9], v[11:12]
	s_delay_alu instid0(VALU_DEP_3) | instskip(SKIP_1) | instid1(VALU_DEP_3)
	v_add_co_u32 v105, vcc_lo, v107, v105
	s_wait_alu 0xfffd
	v_add_co_ci_u32_e32 v106, vcc_lo, v8, v106, vcc_lo
	v_mul_f64_e32 v[8:9], s[8:9], v[13:14]
	v_mul_f64_e32 v[10:11], s[8:9], v[15:16]
	s_mul_u64 s[0:1], s[4:5], 0x2710
	v_mul_f64_e32 v[14:15], s[8:9], v[31:32]
	s_wait_alu 0xfffe
	v_add_co_u32 v107, vcc_lo, v105, s0
	s_wait_alu 0xfffd
	v_add_co_ci_u32_e32 v108, vcc_lo, s1, v106, vcc_lo
	s_delay_alu instid0(VALU_DEP_2) | instskip(SKIP_1) | instid1(VALU_DEP_2)
	v_add_co_u32 v12, vcc_lo, v107, s0
	s_wait_alu 0xfffd
	v_add_co_ci_u32_e32 v13, vcc_lo, s1, v108, vcc_lo
	global_store_b128 v[105:106], v[0:3], off
	v_add_co_u32 v109, vcc_lo, v12, s0
	s_wait_alu 0xfffd
	v_add_co_ci_u32_e32 v110, vcc_lo, s1, v13, vcc_lo
	v_mul_f64_e32 v[0:1], s[8:9], v[17:18]
	v_mul_f64_e32 v[2:3], s[8:9], v[19:20]
	v_add_co_u32 v105, vcc_lo, v109, s0
	s_wait_alu 0xfffd
	v_add_co_ci_u32_e32 v106, vcc_lo, s1, v110, vcc_lo
	v_mul_f64_e32 v[16:17], s[8:9], v[33:34]
	s_delay_alu instid0(VALU_DEP_3) | instskip(SKIP_1) | instid1(VALU_DEP_3)
	v_add_co_u32 v111, vcc_lo, v105, s2
	s_wait_alu 0xfffd
	v_add_co_ci_u32_e32 v112, vcc_lo, s3, v106, vcc_lo
	v_mul_f64_e32 v[18:19], s[8:9], v[35:36]
	s_delay_alu instid0(VALU_DEP_3) | instskip(SKIP_1) | instid1(VALU_DEP_3)
	v_add_co_u32 v113, vcc_lo, v111, s0
	s_wait_alu 0xfffd
	v_add_co_ci_u32_e32 v114, vcc_lo, s1, v112, vcc_lo
	global_store_b128 v[107:108], v[4:7], off
	v_mul_f64_e32 v[4:5], s[8:9], v[21:22]
	v_mul_f64_e32 v[6:7], s[8:9], v[23:24]
	;; [unrolled: 1-line block ×4, first 2 shown]
	global_store_b128 v[12:13], v[8:11], off
	v_mul_f64_e32 v[8:9], s[8:9], v[25:26]
	v_mul_f64_e32 v[10:11], s[8:9], v[27:28]
	;; [unrolled: 1-line block ×5, first 2 shown]
	v_add_co_u32 v107, vcc_lo, v113, s0
	v_mul_f64_e32 v[28:29], s[8:9], v[45:46]
	v_mul_f64_e32 v[30:31], s[8:9], v[47:48]
	;; [unrolled: 1-line block ×4, first 2 shown]
	s_wait_alu 0xfffd
	v_add_co_ci_u32_e32 v108, vcc_lo, s1, v114, vcc_lo
	v_mul_f64_e32 v[36:37], s[8:9], v[53:54]
	v_mul_f64_e32 v[38:39], s[8:9], v[55:56]
	;; [unrolled: 1-line block ×4, first 2 shown]
	v_add_co_u32 v115, vcc_lo, v107, s0
	s_wait_alu 0xfffd
	v_add_co_ci_u32_e32 v116, vcc_lo, s1, v108, vcc_lo
	global_store_b128 v[109:110], v[0:3], off
	v_add_co_u32 v117, vcc_lo, v115, s0
	s_wait_alu 0xfffd
	v_add_co_ci_u32_e32 v118, vcc_lo, s1, v116, vcc_lo
	v_mul_f64_e32 v[0:1], s[8:9], v[61:62]
	s_delay_alu instid0(VALU_DEP_3) | instskip(SKIP_1) | instid1(VALU_DEP_3)
	v_add_co_u32 v119, vcc_lo, v117, s2
	s_wait_alu 0xfffd
	v_add_co_ci_u32_e32 v120, vcc_lo, s3, v118, vcc_lo
	v_mul_f64_e32 v[2:3], s[8:9], v[63:64]
	s_delay_alu instid0(VALU_DEP_3) | instskip(SKIP_1) | instid1(VALU_DEP_3)
	;; [unrolled: 5-line block ×4, first 2 shown]
	v_add_co_u32 v52, vcc_lo, v50, s0
	s_wait_alu 0xfffd
	v_add_co_ci_u32_e32 v53, vcc_lo, s1, v51, vcc_lo
	global_store_b128 v[105:106], v[4:7], off
	global_store_b128 v[111:112], v[8:11], off
	;; [unrolled: 1-line block ×10, first 2 shown]
	v_mul_f64_e32 v[4:5], s[8:9], v[69:70]
	v_mul_f64_e32 v[6:7], s[8:9], v[71:72]
	v_add_co_u32 v54, vcc_lo, v52, s0
	s_wait_alu 0xfffd
	v_add_co_ci_u32_e32 v55, vcc_lo, s1, v53, vcc_lo
	v_mul_f64_e32 v[8:9], s[8:9], v[73:74]
	s_delay_alu instid0(VALU_DEP_3) | instskip(SKIP_1) | instid1(VALU_DEP_3)
	v_add_co_u32 v56, vcc_lo, v54, s2
	s_wait_alu 0xfffd
	v_add_co_ci_u32_e32 v57, vcc_lo, s3, v55, vcc_lo
	v_mul_f64_e32 v[10:11], s[8:9], v[75:76]
	s_delay_alu instid0(VALU_DEP_3) | instskip(SKIP_1) | instid1(VALU_DEP_3)
	v_add_co_u32 v40, vcc_lo, v56, s0
	s_wait_alu 0xfffd
	v_add_co_ci_u32_e32 v41, vcc_lo, s1, v57, vcc_lo
	v_mul_f64_e32 v[12:13], s[8:9], v[77:78]
	v_mul_f64_e32 v[14:15], s[8:9], v[79:80]
	v_mul_f64_e32 v[16:17], s[8:9], v[81:82]
	v_mul_f64_e32 v[18:19], s[8:9], v[83:84]
	v_add_co_u32 v42, vcc_lo, v40, s0
	v_mul_f64_e32 v[20:21], s[8:9], v[85:86]
	v_mul_f64_e32 v[22:23], s[8:9], v[87:88]
	;; [unrolled: 1-line block ×4, first 2 shown]
	s_wait_alu 0xfffd
	v_add_co_ci_u32_e32 v43, vcc_lo, s1, v41, vcc_lo
	v_mul_f64_e32 v[28:29], s[8:9], v[93:94]
	v_mul_f64_e32 v[30:31], s[8:9], v[95:96]
	;; [unrolled: 1-line block ×6, first 2 shown]
	v_add_co_u32 v48, vcc_lo, v42, s0
	s_wait_alu 0xfffd
	v_add_co_ci_u32_e32 v49, vcc_lo, s1, v43, vcc_lo
	global_store_b128 v[54:55], v[0:3], off
	v_add_co_u32 v0, vcc_lo, v48, s0
	s_wait_alu 0xfffd
	v_add_co_ci_u32_e32 v1, vcc_lo, s1, v49, vcc_lo
	global_store_b128 v[56:57], v[44:47], off
	;; [unrolled: 4-line block ×7, first 2 shown]
	global_store_b128 v[4:5], v[24:27], off
	global_store_b128 v[6:7], v[28:31], off
	;; [unrolled: 1-line block ×4, first 2 shown]
.LBB0_2:
	s_nop 0
	s_sendmsg sendmsg(MSG_DEALLOC_VGPRS)
	s_endpgm
	.section	.rodata,"a",@progbits
	.p2align	6, 0x0
	.amdhsa_kernel bluestein_single_fwd_len3125_dim1_dp_op_CI_CI
		.amdhsa_group_segment_fixed_size 50000
		.amdhsa_private_segment_fixed_size 1524
		.amdhsa_kernarg_size 104
		.amdhsa_user_sgpr_count 2
		.amdhsa_user_sgpr_dispatch_ptr 0
		.amdhsa_user_sgpr_queue_ptr 0
		.amdhsa_user_sgpr_kernarg_segment_ptr 1
		.amdhsa_user_sgpr_dispatch_id 0
		.amdhsa_user_sgpr_private_segment_size 0
		.amdhsa_wavefront_size32 1
		.amdhsa_uses_dynamic_stack 0
		.amdhsa_enable_private_segment 1
		.amdhsa_system_sgpr_workgroup_id_x 1
		.amdhsa_system_sgpr_workgroup_id_y 0
		.amdhsa_system_sgpr_workgroup_id_z 0
		.amdhsa_system_sgpr_workgroup_info 0
		.amdhsa_system_vgpr_workitem_id 0
		.amdhsa_next_free_vgpr 256
		.amdhsa_next_free_sgpr 23
		.amdhsa_reserve_vcc 1
		.amdhsa_float_round_mode_32 0
		.amdhsa_float_round_mode_16_64 0
		.amdhsa_float_denorm_mode_32 3
		.amdhsa_float_denorm_mode_16_64 3
		.amdhsa_fp16_overflow 0
		.amdhsa_workgroup_processor_mode 1
		.amdhsa_memory_ordered 1
		.amdhsa_forward_progress 0
		.amdhsa_round_robin_scheduling 0
		.amdhsa_exception_fp_ieee_invalid_op 0
		.amdhsa_exception_fp_denorm_src 0
		.amdhsa_exception_fp_ieee_div_zero 0
		.amdhsa_exception_fp_ieee_overflow 0
		.amdhsa_exception_fp_ieee_underflow 0
		.amdhsa_exception_fp_ieee_inexact 0
		.amdhsa_exception_int_div_zero 0
	.end_amdhsa_kernel
	.text
.Lfunc_end0:
	.size	bluestein_single_fwd_len3125_dim1_dp_op_CI_CI, .Lfunc_end0-bluestein_single_fwd_len3125_dim1_dp_op_CI_CI
                                        ; -- End function
	.section	.AMDGPU.csdata,"",@progbits
; Kernel info:
; codeLenInByte = 42184
; NumSgprs: 25
; NumVgprs: 256
; ScratchSize: 1524
; MemoryBound: 0
; FloatMode: 240
; IeeeMode: 1
; LDSByteSize: 50000 bytes/workgroup (compile time only)
; SGPRBlocks: 3
; VGPRBlocks: 31
; NumSGPRsForWavesPerEU: 25
; NumVGPRsForWavesPerEU: 256
; Occupancy: 2
; WaveLimiterHint : 1
; COMPUTE_PGM_RSRC2:SCRATCH_EN: 1
; COMPUTE_PGM_RSRC2:USER_SGPR: 2
; COMPUTE_PGM_RSRC2:TRAP_HANDLER: 0
; COMPUTE_PGM_RSRC2:TGID_X_EN: 1
; COMPUTE_PGM_RSRC2:TGID_Y_EN: 0
; COMPUTE_PGM_RSRC2:TGID_Z_EN: 0
; COMPUTE_PGM_RSRC2:TIDIG_COMP_CNT: 0
	.text
	.p2alignl 7, 3214868480
	.fill 96, 4, 3214868480
	.type	__hip_cuid_b0aed45e655e9e3a,@object ; @__hip_cuid_b0aed45e655e9e3a
	.section	.bss,"aw",@nobits
	.globl	__hip_cuid_b0aed45e655e9e3a
__hip_cuid_b0aed45e655e9e3a:
	.byte	0                               ; 0x0
	.size	__hip_cuid_b0aed45e655e9e3a, 1

	.ident	"AMD clang version 19.0.0git (https://github.com/RadeonOpenCompute/llvm-project roc-6.4.0 25133 c7fe45cf4b819c5991fe208aaa96edf142730f1d)"
	.section	".note.GNU-stack","",@progbits
	.addrsig
	.addrsig_sym __hip_cuid_b0aed45e655e9e3a
	.amdgpu_metadata
---
amdhsa.kernels:
  - .args:
      - .actual_access:  read_only
        .address_space:  global
        .offset:         0
        .size:           8
        .value_kind:     global_buffer
      - .actual_access:  read_only
        .address_space:  global
        .offset:         8
        .size:           8
        .value_kind:     global_buffer
      - .actual_access:  read_only
        .address_space:  global
        .offset:         16
        .size:           8
        .value_kind:     global_buffer
      - .actual_access:  read_only
        .address_space:  global
        .offset:         24
        .size:           8
        .value_kind:     global_buffer
      - .actual_access:  read_only
        .address_space:  global
        .offset:         32
        .size:           8
        .value_kind:     global_buffer
      - .offset:         40
        .size:           8
        .value_kind:     by_value
      - .address_space:  global
        .offset:         48
        .size:           8
        .value_kind:     global_buffer
      - .address_space:  global
        .offset:         56
        .size:           8
        .value_kind:     global_buffer
      - .address_space:  global
        .offset:         64
        .size:           8
        .value_kind:     global_buffer
      - .address_space:  global
        .offset:         72
        .size:           8
        .value_kind:     global_buffer
      - .offset:         80
        .size:           4
        .value_kind:     by_value
      - .address_space:  global
        .offset:         88
        .size:           8
        .value_kind:     global_buffer
      - .address_space:  global
        .offset:         96
        .size:           8
        .value_kind:     global_buffer
    .group_segment_fixed_size: 50000
    .kernarg_segment_align: 8
    .kernarg_segment_size: 104
    .language:       OpenCL C
    .language_version:
      - 2
      - 0
    .max_flat_workgroup_size: 125
    .name:           bluestein_single_fwd_len3125_dim1_dp_op_CI_CI
    .private_segment_fixed_size: 1524
    .sgpr_count:     25
    .sgpr_spill_count: 0
    .symbol:         bluestein_single_fwd_len3125_dim1_dp_op_CI_CI.kd
    .uniform_work_group_size: 1
    .uses_dynamic_stack: false
    .vgpr_count:     256
    .vgpr_spill_count: 380
    .wavefront_size: 32
    .workgroup_processor_mode: 1
amdhsa.target:   amdgcn-amd-amdhsa--gfx1201
amdhsa.version:
  - 1
  - 2
...

	.end_amdgpu_metadata
